;; amdgpu-corpus repo=ROCm/rocFFT kind=compiled arch=gfx1100 opt=O3
	.text
	.amdgcn_target "amdgcn-amd-amdhsa--gfx1100"
	.amdhsa_code_object_version 6
	.protected	fft_rtc_fwd_len320_factors_10_4_4_2_wgs_64_tpt_16_halfLds_dp_op_CI_CI_sbrr_dirReg ; -- Begin function fft_rtc_fwd_len320_factors_10_4_4_2_wgs_64_tpt_16_halfLds_dp_op_CI_CI_sbrr_dirReg
	.globl	fft_rtc_fwd_len320_factors_10_4_4_2_wgs_64_tpt_16_halfLds_dp_op_CI_CI_sbrr_dirReg
	.p2align	8
	.type	fft_rtc_fwd_len320_factors_10_4_4_2_wgs_64_tpt_16_halfLds_dp_op_CI_CI_sbrr_dirReg,@function
fft_rtc_fwd_len320_factors_10_4_4_2_wgs_64_tpt_16_halfLds_dp_op_CI_CI_sbrr_dirReg: ; @fft_rtc_fwd_len320_factors_10_4_4_2_wgs_64_tpt_16_halfLds_dp_op_CI_CI_sbrr_dirReg
; %bb.0:
	s_clause 0x2
	s_load_b128 s[16:19], s[0:1], 0x18
	s_load_b128 s[8:11], s[0:1], 0x0
	;; [unrolled: 1-line block ×3, first 2 shown]
	v_lshrrev_b32_e32 v81, 4, v0
	v_dual_mov_b32 v1, 0 :: v_dual_mov_b32 v4, 0
	v_mov_b32_e32 v5, 0
	s_waitcnt lgkmcnt(0)
	s_load_b64 s[20:21], s[16:17], 0x0
	s_load_b64 s[12:13], s[18:19], 0x0
	v_cmp_lt_u64_e64 s2, s[10:11], 2
	v_lshl_or_b32 v6, s15, 2, v81
	v_mov_b32_e32 v7, v1
	s_delay_alu instid0(VALU_DEP_3)
	s_and_b32 vcc_lo, exec_lo, s2
	s_cbranch_vccnz .LBB0_8
; %bb.1:
	s_load_b64 s[2:3], s[0:1], 0x10
	v_mov_b32_e32 v4, 0
	v_mov_b32_e32 v5, 0
	s_add_u32 s14, s18, 8
	s_addc_u32 s15, s19, 0
	s_add_u32 s22, s16, 8
	s_addc_u32 s23, s17, 0
	v_dual_mov_b32 v83, v5 :: v_dual_mov_b32 v82, v4
	s_mov_b64 s[26:27], 1
	s_waitcnt lgkmcnt(0)
	s_add_u32 s24, s2, 8
	s_addc_u32 s25, s3, 0
.LBB0_2:                                ; =>This Inner Loop Header: Depth=1
	s_load_b64 s[28:29], s[24:25], 0x0
                                        ; implicit-def: $vgpr84_vgpr85
	s_mov_b32 s2, exec_lo
	s_waitcnt lgkmcnt(0)
	v_or_b32_e32 v2, s29, v7
	s_delay_alu instid0(VALU_DEP_1)
	v_cmpx_ne_u64_e32 0, v[1:2]
	s_xor_b32 s3, exec_lo, s2
	s_cbranch_execz .LBB0_4
; %bb.3:                                ;   in Loop: Header=BB0_2 Depth=1
	v_cvt_f32_u32_e32 v2, s28
	v_cvt_f32_u32_e32 v3, s29
	s_sub_u32 s2, 0, s28
	s_subb_u32 s30, 0, s29
	s_delay_alu instid0(VALU_DEP_1) | instskip(NEXT) | instid1(VALU_DEP_1)
	v_fmac_f32_e32 v2, 0x4f800000, v3
	v_rcp_f32_e32 v2, v2
	s_waitcnt_depctr 0xfff
	v_mul_f32_e32 v2, 0x5f7ffffc, v2
	s_delay_alu instid0(VALU_DEP_1) | instskip(NEXT) | instid1(VALU_DEP_1)
	v_mul_f32_e32 v3, 0x2f800000, v2
	v_trunc_f32_e32 v3, v3
	s_delay_alu instid0(VALU_DEP_1) | instskip(SKIP_1) | instid1(VALU_DEP_2)
	v_fmac_f32_e32 v2, 0xcf800000, v3
	v_cvt_u32_f32_e32 v3, v3
	v_cvt_u32_f32_e32 v2, v2
	s_delay_alu instid0(VALU_DEP_2) | instskip(NEXT) | instid1(VALU_DEP_2)
	v_mul_lo_u32 v8, s2, v3
	v_mul_hi_u32 v9, s2, v2
	v_mul_lo_u32 v10, s30, v2
	s_delay_alu instid0(VALU_DEP_2) | instskip(SKIP_1) | instid1(VALU_DEP_2)
	v_add_nc_u32_e32 v8, v9, v8
	v_mul_lo_u32 v9, s2, v2
	v_add_nc_u32_e32 v8, v8, v10
	s_delay_alu instid0(VALU_DEP_2) | instskip(NEXT) | instid1(VALU_DEP_2)
	v_mul_hi_u32 v10, v2, v9
	v_mul_lo_u32 v11, v2, v8
	v_mul_hi_u32 v12, v2, v8
	v_mul_hi_u32 v13, v3, v9
	v_mul_lo_u32 v9, v3, v9
	v_mul_hi_u32 v14, v3, v8
	v_mul_lo_u32 v8, v3, v8
	v_add_co_u32 v10, vcc_lo, v10, v11
	v_add_co_ci_u32_e32 v11, vcc_lo, 0, v12, vcc_lo
	s_delay_alu instid0(VALU_DEP_2) | instskip(NEXT) | instid1(VALU_DEP_2)
	v_add_co_u32 v9, vcc_lo, v10, v9
	v_add_co_ci_u32_e32 v9, vcc_lo, v11, v13, vcc_lo
	v_add_co_ci_u32_e32 v10, vcc_lo, 0, v14, vcc_lo
	s_delay_alu instid0(VALU_DEP_2) | instskip(NEXT) | instid1(VALU_DEP_2)
	v_add_co_u32 v8, vcc_lo, v9, v8
	v_add_co_ci_u32_e32 v9, vcc_lo, 0, v10, vcc_lo
	s_delay_alu instid0(VALU_DEP_2) | instskip(NEXT) | instid1(VALU_DEP_2)
	v_add_co_u32 v2, vcc_lo, v2, v8
	v_add_co_ci_u32_e32 v3, vcc_lo, v3, v9, vcc_lo
	s_delay_alu instid0(VALU_DEP_2) | instskip(SKIP_1) | instid1(VALU_DEP_3)
	v_mul_hi_u32 v8, s2, v2
	v_mul_lo_u32 v10, s30, v2
	v_mul_lo_u32 v9, s2, v3
	s_delay_alu instid0(VALU_DEP_1) | instskip(SKIP_1) | instid1(VALU_DEP_2)
	v_add_nc_u32_e32 v8, v8, v9
	v_mul_lo_u32 v9, s2, v2
	v_add_nc_u32_e32 v8, v8, v10
	s_delay_alu instid0(VALU_DEP_2) | instskip(NEXT) | instid1(VALU_DEP_2)
	v_mul_hi_u32 v10, v2, v9
	v_mul_lo_u32 v11, v2, v8
	v_mul_hi_u32 v12, v2, v8
	v_mul_hi_u32 v13, v3, v9
	v_mul_lo_u32 v9, v3, v9
	v_mul_hi_u32 v14, v3, v8
	v_mul_lo_u32 v8, v3, v8
	v_add_co_u32 v10, vcc_lo, v10, v11
	v_add_co_ci_u32_e32 v11, vcc_lo, 0, v12, vcc_lo
	s_delay_alu instid0(VALU_DEP_2) | instskip(NEXT) | instid1(VALU_DEP_2)
	v_add_co_u32 v9, vcc_lo, v10, v9
	v_add_co_ci_u32_e32 v9, vcc_lo, v11, v13, vcc_lo
	v_add_co_ci_u32_e32 v10, vcc_lo, 0, v14, vcc_lo
	s_delay_alu instid0(VALU_DEP_2) | instskip(NEXT) | instid1(VALU_DEP_2)
	v_add_co_u32 v8, vcc_lo, v9, v8
	v_add_co_ci_u32_e32 v9, vcc_lo, 0, v10, vcc_lo
	s_delay_alu instid0(VALU_DEP_2) | instskip(NEXT) | instid1(VALU_DEP_2)
	v_add_co_u32 v10, vcc_lo, v2, v8
	v_add_co_ci_u32_e32 v12, vcc_lo, v3, v9, vcc_lo
	s_delay_alu instid0(VALU_DEP_2) | instskip(SKIP_1) | instid1(VALU_DEP_3)
	v_mul_hi_u32 v13, v6, v10
	v_mad_u64_u32 v[8:9], null, v7, v10, 0
	v_mad_u64_u32 v[2:3], null, v6, v12, 0
	;; [unrolled: 1-line block ×3, first 2 shown]
	s_delay_alu instid0(VALU_DEP_2) | instskip(NEXT) | instid1(VALU_DEP_3)
	v_add_co_u32 v2, vcc_lo, v13, v2
	v_add_co_ci_u32_e32 v3, vcc_lo, 0, v3, vcc_lo
	s_delay_alu instid0(VALU_DEP_2) | instskip(NEXT) | instid1(VALU_DEP_2)
	v_add_co_u32 v2, vcc_lo, v2, v8
	v_add_co_ci_u32_e32 v2, vcc_lo, v3, v9, vcc_lo
	v_add_co_ci_u32_e32 v3, vcc_lo, 0, v11, vcc_lo
	s_delay_alu instid0(VALU_DEP_2) | instskip(NEXT) | instid1(VALU_DEP_2)
	v_add_co_u32 v8, vcc_lo, v2, v10
	v_add_co_ci_u32_e32 v9, vcc_lo, 0, v3, vcc_lo
	s_delay_alu instid0(VALU_DEP_2) | instskip(SKIP_1) | instid1(VALU_DEP_3)
	v_mul_lo_u32 v10, s29, v8
	v_mad_u64_u32 v[2:3], null, s28, v8, 0
	v_mul_lo_u32 v11, s28, v9
	s_delay_alu instid0(VALU_DEP_2) | instskip(NEXT) | instid1(VALU_DEP_2)
	v_sub_co_u32 v2, vcc_lo, v6, v2
	v_add3_u32 v3, v3, v11, v10
	s_delay_alu instid0(VALU_DEP_1) | instskip(NEXT) | instid1(VALU_DEP_1)
	v_sub_nc_u32_e32 v10, v7, v3
	v_subrev_co_ci_u32_e64 v10, s2, s29, v10, vcc_lo
	v_add_co_u32 v11, s2, v8, 2
	s_delay_alu instid0(VALU_DEP_1) | instskip(SKIP_3) | instid1(VALU_DEP_3)
	v_add_co_ci_u32_e64 v12, s2, 0, v9, s2
	v_sub_co_u32 v13, s2, v2, s28
	v_sub_co_ci_u32_e32 v3, vcc_lo, v7, v3, vcc_lo
	v_subrev_co_ci_u32_e64 v10, s2, 0, v10, s2
	v_cmp_le_u32_e32 vcc_lo, s28, v13
	s_delay_alu instid0(VALU_DEP_3) | instskip(SKIP_1) | instid1(VALU_DEP_4)
	v_cmp_eq_u32_e64 s2, s29, v3
	v_cndmask_b32_e64 v13, 0, -1, vcc_lo
	v_cmp_le_u32_e32 vcc_lo, s29, v10
	v_cndmask_b32_e64 v14, 0, -1, vcc_lo
	v_cmp_le_u32_e32 vcc_lo, s28, v2
	;; [unrolled: 2-line block ×3, first 2 shown]
	v_cndmask_b32_e64 v15, 0, -1, vcc_lo
	v_cmp_eq_u32_e32 vcc_lo, s29, v10
	s_delay_alu instid0(VALU_DEP_2) | instskip(SKIP_3) | instid1(VALU_DEP_3)
	v_cndmask_b32_e64 v2, v15, v2, s2
	v_cndmask_b32_e32 v10, v14, v13, vcc_lo
	v_add_co_u32 v13, vcc_lo, v8, 1
	v_add_co_ci_u32_e32 v14, vcc_lo, 0, v9, vcc_lo
	v_cmp_ne_u32_e32 vcc_lo, 0, v10
	s_delay_alu instid0(VALU_DEP_2) | instskip(SKIP_1) | instid1(VALU_DEP_2)
	v_dual_cndmask_b32 v3, v14, v12 :: v_dual_cndmask_b32 v10, v13, v11
	v_cmp_ne_u32_e32 vcc_lo, 0, v2
	v_dual_cndmask_b32 v85, v9, v3 :: v_dual_cndmask_b32 v84, v8, v10
.LBB0_4:                                ;   in Loop: Header=BB0_2 Depth=1
	s_and_not1_saveexec_b32 s2, s3
	s_cbranch_execz .LBB0_6
; %bb.5:                                ;   in Loop: Header=BB0_2 Depth=1
	v_cvt_f32_u32_e32 v2, s28
	s_sub_i32 s3, 0, s28
	v_mov_b32_e32 v85, v1
	s_delay_alu instid0(VALU_DEP_2) | instskip(SKIP_2) | instid1(VALU_DEP_1)
	v_rcp_iflag_f32_e32 v2, v2
	s_waitcnt_depctr 0xfff
	v_mul_f32_e32 v2, 0x4f7ffffe, v2
	v_cvt_u32_f32_e32 v2, v2
	s_delay_alu instid0(VALU_DEP_1) | instskip(NEXT) | instid1(VALU_DEP_1)
	v_mul_lo_u32 v3, s3, v2
	v_mul_hi_u32 v3, v2, v3
	s_delay_alu instid0(VALU_DEP_1) | instskip(NEXT) | instid1(VALU_DEP_1)
	v_add_nc_u32_e32 v2, v2, v3
	v_mul_hi_u32 v2, v6, v2
	s_delay_alu instid0(VALU_DEP_1) | instskip(SKIP_1) | instid1(VALU_DEP_2)
	v_mul_lo_u32 v3, v2, s28
	v_add_nc_u32_e32 v8, 1, v2
	v_sub_nc_u32_e32 v3, v6, v3
	s_delay_alu instid0(VALU_DEP_1) | instskip(SKIP_1) | instid1(VALU_DEP_2)
	v_subrev_nc_u32_e32 v9, s28, v3
	v_cmp_le_u32_e32 vcc_lo, s28, v3
	v_dual_cndmask_b32 v3, v3, v9 :: v_dual_cndmask_b32 v2, v2, v8
	s_delay_alu instid0(VALU_DEP_1) | instskip(NEXT) | instid1(VALU_DEP_2)
	v_cmp_le_u32_e32 vcc_lo, s28, v3
	v_add_nc_u32_e32 v8, 1, v2
	s_delay_alu instid0(VALU_DEP_1)
	v_cndmask_b32_e32 v84, v2, v8, vcc_lo
.LBB0_6:                                ;   in Loop: Header=BB0_2 Depth=1
	s_or_b32 exec_lo, exec_lo, s2
	s_delay_alu instid0(VALU_DEP_1) | instskip(NEXT) | instid1(VALU_DEP_2)
	v_mul_lo_u32 v8, v85, s28
	v_mul_lo_u32 v9, v84, s29
	s_load_b64 s[2:3], s[22:23], 0x0
	v_mad_u64_u32 v[2:3], null, v84, s28, 0
	s_load_b64 s[28:29], s[14:15], 0x0
	s_add_u32 s26, s26, 1
	s_addc_u32 s27, s27, 0
	s_add_u32 s14, s14, 8
	s_addc_u32 s15, s15, 0
	s_add_u32 s22, s22, 8
	s_delay_alu instid0(VALU_DEP_1) | instskip(SKIP_3) | instid1(VALU_DEP_2)
	v_add3_u32 v3, v3, v9, v8
	v_sub_co_u32 v8, vcc_lo, v6, v2
	s_addc_u32 s23, s23, 0
	s_add_u32 s24, s24, 8
	v_sub_co_ci_u32_e32 v6, vcc_lo, v7, v3, vcc_lo
	s_addc_u32 s25, s25, 0
	s_waitcnt lgkmcnt(0)
	s_delay_alu instid0(VALU_DEP_1)
	v_mul_lo_u32 v9, s2, v6
	v_mul_lo_u32 v10, s3, v8
	v_mad_u64_u32 v[2:3], null, s2, v8, v[4:5]
	v_mul_lo_u32 v11, s28, v6
	v_mul_lo_u32 v12, s29, v8
	v_mad_u64_u32 v[6:7], null, s28, v8, v[82:83]
	v_cmp_ge_u64_e64 s2, s[26:27], s[10:11]
	v_add3_u32 v5, v10, v3, v9
	v_mov_b32_e32 v4, v2
	s_delay_alu instid0(VALU_DEP_4)
	v_add3_u32 v83, v12, v7, v11
	v_mov_b32_e32 v82, v6
	s_and_b32 vcc_lo, exec_lo, s2
	s_cbranch_vccnz .LBB0_9
; %bb.7:                                ;   in Loop: Header=BB0_2 Depth=1
	v_dual_mov_b32 v6, v84 :: v_dual_mov_b32 v7, v85
	s_branch .LBB0_2
.LBB0_8:
	v_dual_mov_b32 v83, v5 :: v_dual_mov_b32 v82, v4
	s_delay_alu instid0(VALU_DEP_2)
	v_dual_mov_b32 v85, v7 :: v_dual_mov_b32 v84, v6
.LBB0_9:
	s_load_b64 s[0:1], s[0:1], 0x28
	s_lshl_b64 s[10:11], s[10:11], 3
	v_and_b32_e32 v80, 15, v0
	s_add_u32 s2, s18, s10
	s_addc_u32 s3, s19, s11
                                        ; implicit-def: $vgpr93
                                        ; implicit-def: $vgpr97
                                        ; implicit-def: $vgpr91
                                        ; implicit-def: $vgpr86
                                        ; implicit-def: $vgpr100
                                        ; implicit-def: $vgpr95
                                        ; implicit-def: $vgpr90
                                        ; implicit-def: $vgpr88
                                        ; implicit-def: $vgpr99
	s_waitcnt lgkmcnt(0)
	v_cmp_gt_u64_e32 vcc_lo, s[0:1], v[84:85]
	v_cmp_le_u64_e64 s0, s[0:1], v[84:85]
	s_delay_alu instid0(VALU_DEP_1) | instskip(NEXT) | instid1(SALU_CYCLE_1)
	s_and_saveexec_b32 s1, s0
	s_xor_b32 s0, exec_lo, s1
; %bb.10:
	v_and_b32_e32 v80, 15, v0
                                        ; implicit-def: $vgpr4_vgpr5
	s_delay_alu instid0(VALU_DEP_1)
	v_or_b32_e32 v93, 16, v80
	v_or_b32_e32 v97, 0x50, v80
	;; [unrolled: 1-line block ×9, first 2 shown]
; %bb.11:
	s_or_saveexec_b32 s1, s0
                                        ; implicit-def: $vgpr10_vgpr11
                                        ; implicit-def: $vgpr74_vgpr75
                                        ; implicit-def: $vgpr26_vgpr27
                                        ; implicit-def: $vgpr30_vgpr31
                                        ; implicit-def: $vgpr2_vgpr3
                                        ; implicit-def: $vgpr66_vgpr67
                                        ; implicit-def: $vgpr54_vgpr55
                                        ; implicit-def: $vgpr62_vgpr63
                                        ; implicit-def: $vgpr46_vgpr47
                                        ; implicit-def: $vgpr18_vgpr19
                                        ; implicit-def: $vgpr22_vgpr23
                                        ; implicit-def: $vgpr50_vgpr51
                                        ; implicit-def: $vgpr58_vgpr59
                                        ; implicit-def: $vgpr78_vgpr79
                                        ; implicit-def: $vgpr70_vgpr71
                                        ; implicit-def: $vgpr6_vgpr7
                                        ; implicit-def: $vgpr42_vgpr43
                                        ; implicit-def: $vgpr38_vgpr39
                                        ; implicit-def: $vgpr34_vgpr35
                                        ; implicit-def: $vgpr14_vgpr15
	s_delay_alu instid0(SALU_CYCLE_1)
	s_xor_b32 exec_lo, exec_lo, s1
	s_cbranch_execz .LBB0_13
; %bb.12:
	s_add_u32 s10, s16, s10
	s_addc_u32 s11, s17, s11
	v_or_b32_e32 v86, 32, v80
	s_load_b64 s[10:11], s[10:11], 0x0
	v_or_b32_e32 v88, 64, v80
	v_mad_u64_u32 v[0:1], null, s20, v80, 0
	s_delay_alu instid0(VALU_DEP_3) | instskip(NEXT) | instid1(VALU_DEP_3)
	v_mad_u64_u32 v[2:3], null, s20, v86, 0
	v_mad_u64_u32 v[6:7], null, s20, v88, 0
	v_lshlrev_b64 v[4:5], 4, v[4:5]
	v_or_b32_e32 v90, 0x80, v80
	v_or_b32_e32 v91, 0x60, v80
	;; [unrolled: 1-line block ×3, first 2 shown]
	v_mad_u64_u32 v[10:11], null, s21, v80, v[1:2]
	v_or_b32_e32 v23, 0xe0, v80
	s_delay_alu instid0(VALU_DEP_4) | instskip(NEXT) | instid1(VALU_DEP_4)
	v_mad_u64_u32 v[16:17], null, s20, v91, 0
	v_mad_u64_u32 v[18:19], null, s20, v22, 0
	v_or_b32_e32 v30, 0x100, v80
	s_waitcnt lgkmcnt(0)
	v_mul_lo_u32 v12, s11, v84
	v_mul_lo_u32 v13, s10, v85
	v_mad_u64_u32 v[8:9], null, s10, v84, 0
	v_mov_b32_e32 v11, v17
	v_or_b32_e32 v31, 0x120, v80
	v_or_b32_e32 v93, 16, v80
	;; [unrolled: 1-line block ×5, first 2 shown]
	v_add3_u32 v9, v9, v13, v12
	v_mad_u64_u32 v[12:13], null, s21, v86, v[3:4]
	v_mad_u64_u32 v[28:29], null, s20, v31, 0
	s_delay_alu instid0(VALU_DEP_3)
	v_lshlrev_b64 v[8:9], 4, v[8:9]
	v_or_b32_e32 v99, 0x90, v80
	v_or_b32_e32 v54, 0xd0, v80
	;; [unrolled: 1-line block ×3, first 2 shown]
	v_mov_b32_e32 v3, v12
	v_mad_u64_u32 v[20:21], null, s21, v91, v[11:12]
	v_mad_u64_u32 v[13:14], null, s21, v88, v[7:8]
	v_add_co_u32 v7, s0, s4, v8
	s_delay_alu instid0(VALU_DEP_1) | instskip(SKIP_1) | instid1(VALU_DEP_3)
	v_add_co_ci_u32_e64 v8, s0, s5, v9, s0
	v_lshlrev_b64 v[2:3], 4, v[2:3]
	v_add_co_u32 v62, s0, v7, v4
	s_delay_alu instid0(VALU_DEP_1)
	v_add_co_ci_u32_e64 v63, s0, v8, v5, s0
	v_mad_u64_u32 v[4:5], null, s20, v90, 0
	v_mov_b32_e32 v1, v10
	v_mov_b32_e32 v7, v13
	;; [unrolled: 1-line block ×3, first 2 shown]
	v_mad_u64_u32 v[57:58], null, s20, v64, 0
	s_delay_alu instid0(VALU_DEP_4) | instskip(NEXT) | instid1(VALU_DEP_1)
	v_lshlrev_b64 v[0:1], 4, v[0:1]
	v_add_co_u32 v0, s0, v62, v0
	s_delay_alu instid0(VALU_DEP_1) | instskip(SKIP_1) | instid1(VALU_DEP_1)
	v_add_co_ci_u32_e64 v1, s0, v63, v1, s0
	v_add_co_u32 v2, s0, v62, v2
	v_add_co_ci_u32_e64 v3, s0, v63, v3, s0
	s_clause 0x1
	global_load_b128 v[12:15], v[0:1], off
	global_load_b128 v[8:11], v[2:3], off
	v_lshlrev_b64 v[1:2], 4, v[6:7]
	v_dual_mov_b32 v0, v5 :: v_dual_mov_b32 v3, v19
	s_delay_alu instid0(VALU_DEP_1) | instskip(NEXT) | instid1(VALU_DEP_2)
	v_mad_u64_u32 v[5:6], null, s21, v90, v[0:1]
	v_mad_u64_u32 v[6:7], null, s21, v22, v[3:4]
	v_add_co_u32 v0, s0, v62, v1
	s_delay_alu instid0(VALU_DEP_1) | instskip(SKIP_4) | instid1(VALU_DEP_4)
	v_add_co_ci_u32_e64 v1, s0, v63, v2, s0
	v_lshlrev_b64 v[2:3], 4, v[16:17]
	v_lshlrev_b64 v[4:5], 4, v[4:5]
	v_mov_b32_e32 v19, v6
	v_or_b32_e32 v22, 0xc0, v80
	v_add_co_u32 v2, s0, v62, v2
	s_delay_alu instid0(VALU_DEP_3) | instskip(SKIP_2) | instid1(VALU_DEP_1)
	v_lshlrev_b64 v[16:17], 4, v[18:19]
	v_add_co_ci_u32_e64 v3, s0, v63, v3, s0
	v_add_co_u32 v4, s0, v62, v4
	v_add_co_ci_u32_e64 v5, s0, v63, v5, s0
	s_delay_alu instid0(VALU_DEP_4) | instskip(NEXT) | instid1(VALU_DEP_1)
	v_add_co_u32 v16, s0, v62, v16
	v_add_co_ci_u32_e64 v17, s0, v63, v17, s0
	s_clause 0x3
	global_load_b128 v[72:75], v[0:1], off
	global_load_b128 v[32:35], v[2:3], off
	;; [unrolled: 1-line block ×4, first 2 shown]
	v_mad_u64_u32 v[6:7], null, s20, v22, 0
	v_mad_u64_u32 v[18:19], null, s20, v23, 0
	v_mov_b32_e32 v5, v29
	s_waitcnt vmcnt(4)
	s_delay_alu instid0(VALU_DEP_3) | instskip(NEXT) | instid1(VALU_DEP_3)
	v_mad_u64_u32 v[20:21], null, s21, v22, v[7:8]
	v_mov_b32_e32 v7, v19
	s_delay_alu instid0(VALU_DEP_1) | instskip(SKIP_1) | instid1(VALU_DEP_4)
	v_mad_u64_u32 v[21:22], null, s21, v23, v[7:8]
	v_mad_u64_u32 v[22:23], null, s20, v30, 0
	v_mov_b32_e32 v7, v20
	s_delay_alu instid0(VALU_DEP_3) | instskip(NEXT) | instid1(VALU_DEP_2)
	v_mov_b32_e32 v19, v21
	v_lshlrev_b64 v[0:1], 4, v[6:7]
	s_delay_alu instid0(VALU_DEP_4) | instskip(NEXT) | instid1(VALU_DEP_3)
	v_mov_b32_e32 v2, v23
	v_lshlrev_b64 v[3:4], 4, v[18:19]
	s_delay_alu instid0(VALU_DEP_3) | instskip(NEXT) | instid1(VALU_DEP_1)
	v_add_co_u32 v0, s0, v62, v0
	v_add_co_ci_u32_e64 v1, s0, v63, v1, s0
	s_delay_alu instid0(VALU_DEP_3) | instskip(SKIP_1) | instid1(VALU_DEP_1)
	v_mad_u64_u32 v[6:7], null, s21, v30, v[2:3]
	v_add_co_u32 v2, s0, v62, v3
	v_add_co_ci_u32_e64 v3, s0, v63, v4, s0
	s_delay_alu instid0(VALU_DEP_3) | instskip(SKIP_2) | instid1(VALU_DEP_3)
	v_mad_u64_u32 v[16:17], null, s21, v31, v[5:6]
	v_mad_u64_u32 v[17:18], null, s20, v93, 0
	v_mov_b32_e32 v23, v6
	v_mov_b32_e32 v29, v16
	s_delay_alu instid0(VALU_DEP_2) | instskip(NEXT) | instid1(VALU_DEP_4)
	v_lshlrev_b64 v[5:6], 4, v[22:23]
	v_mov_b32_e32 v4, v18
	s_delay_alu instid0(VALU_DEP_3) | instskip(NEXT) | instid1(VALU_DEP_2)
	v_lshlrev_b64 v[18:19], 4, v[28:29]
	v_mad_u64_u32 v[20:21], null, s21, v93, v[4:5]
	v_add_co_u32 v4, s0, v62, v5
	v_mad_u64_u32 v[21:22], null, s20, v95, 0
	v_add_co_ci_u32_e64 v5, s0, v63, v6, s0
	v_add_co_u32 v44, s0, v62, v18
	s_delay_alu instid0(VALU_DEP_1) | instskip(SKIP_3) | instid1(VALU_DEP_3)
	v_add_co_ci_u32_e64 v45, s0, v63, v19, s0
	v_mov_b32_e32 v18, v20
	v_mad_u64_u32 v[19:20], null, s20, v97, 0
	v_mov_b32_e32 v6, v22
	v_lshlrev_b64 v[16:17], 4, v[17:18]
	s_delay_alu instid0(VALU_DEP_2) | instskip(NEXT) | instid1(VALU_DEP_4)
	v_mad_u64_u32 v[22:23], null, s21, v95, v[6:7]
	v_mov_b32_e32 v18, v20
	s_clause 0x3
	global_load_b128 v[28:31], v[0:1], off
	global_load_b128 v[40:43], v[2:3], off
	global_load_b128 v[4:7], v[4:5], off
	global_load_b128 v[0:3], v[44:45], off
	v_mad_u64_u32 v[44:45], null, s20, v100, 0
	v_or_b32_e32 v23, 0xb0, v80
	v_mad_u64_u32 v[46:47], null, s21, v97, v[18:19]
	v_lshlrev_b64 v[21:22], 4, v[21:22]
	v_add_co_u32 v16, s0, v62, v16
	v_mov_b32_e32 v18, v45
	v_add_co_ci_u32_e64 v17, s0, v63, v17, s0
	v_mov_b32_e32 v20, v46
	v_mad_u64_u32 v[46:47], null, s20, v99, 0
	s_delay_alu instid0(VALU_DEP_4) | instskip(SKIP_1) | instid1(VALU_DEP_4)
	v_mad_u64_u32 v[48:49], null, s21, v100, v[18:19]
	v_add_co_u32 v21, s0, v62, v21
	v_lshlrev_b64 v[18:19], 4, v[19:20]
	v_add_co_ci_u32_e64 v22, s0, v63, v22, s0
	s_delay_alu instid0(VALU_DEP_4) | instskip(SKIP_1) | instid1(VALU_DEP_4)
	v_dual_mov_b32 v20, v47 :: v_dual_mov_b32 v45, v48
	v_mad_u64_u32 v[48:49], null, s20, v23, 0
	v_add_co_u32 v18, s0, v62, v18
	s_delay_alu instid0(VALU_DEP_3) | instskip(SKIP_1) | instid1(VALU_DEP_4)
	v_mad_u64_u32 v[50:51], null, s21, v99, v[20:21]
	v_mad_u64_u32 v[51:52], null, s20, v54, 0
	v_mov_b32_e32 v20, v49
	v_lshlrev_b64 v[44:45], 4, v[44:45]
	v_add_co_ci_u32_e64 v19, s0, v63, v19, s0
	v_mov_b32_e32 v47, v50
	s_delay_alu instid0(VALU_DEP_4) | instskip(SKIP_4) | instid1(VALU_DEP_4)
	v_mad_u64_u32 v[49:50], null, s21, v23, v[20:21]
	v_mov_b32_e32 v20, v52
	v_or_b32_e32 v23, 0xf0, v80
	v_or_b32_e32 v50, 0x110, v80
	v_add_co_u32 v44, s0, v62, v44
	v_mad_u64_u32 v[52:53], null, s21, v54, v[20:21]
	s_delay_alu instid0(VALU_DEP_4) | instskip(NEXT) | instid1(VALU_DEP_4)
	v_mad_u64_u32 v[53:54], null, s20, v23, 0
	v_mad_u64_u32 v[55:56], null, s20, v50, 0
	v_lshlrev_b64 v[48:49], 4, v[48:49]
	v_add_co_ci_u32_e64 v45, s0, v63, v45, s0
	s_delay_alu instid0(VALU_DEP_4) | instskip(NEXT) | instid1(VALU_DEP_1)
	v_mov_b32_e32 v20, v54
	v_mad_u64_u32 v[59:60], null, s21, v23, v[20:21]
	v_mov_b32_e32 v20, v56
	v_lshlrev_b64 v[46:47], 4, v[46:47]
	s_delay_alu instid0(VALU_DEP_2) | instskip(NEXT) | instid1(VALU_DEP_4)
	v_mad_u64_u32 v[60:61], null, s21, v50, v[20:21]
	v_dual_mov_b32 v23, v58 :: v_dual_mov_b32 v54, v59
	s_delay_alu instid0(VALU_DEP_3)
	v_add_co_u32 v46, s0, v62, v46
	v_lshlrev_b64 v[50:51], 4, v[51:52]
	v_add_co_ci_u32_e64 v47, s0, v63, v47, s0
	v_mov_b32_e32 v56, v60
	s_waitcnt vmcnt(4)
	v_mad_u64_u32 v[58:59], null, s21, v64, v[23:24]
	v_add_co_u32 v48, s0, v62, v48
	s_clause 0x1
	global_load_b128 v[64:67], v[16:17], off
	global_load_b128 v[68:71], v[21:22], off
	v_lshlrev_b64 v[16:17], 4, v[53:54]
	v_add_co_ci_u32_e64 v49, s0, v63, v49, s0
	v_add_co_u32 v20, s0, v62, v50
	v_lshlrev_b64 v[22:23], 4, v[55:56]
	v_add_co_ci_u32_e64 v21, s0, v63, v51, s0
	v_add_co_u32 v16, s0, v62, v16
	;; [unrolled: 3-line block ×3, first 2 shown]
	s_delay_alu instid0(VALU_DEP_1) | instskip(NEXT) | instid1(VALU_DEP_4)
	v_add_co_ci_u32_e64 v23, s0, v63, v23, s0
	v_add_co_u32 v101, s0, v62, v50
	s_delay_alu instid0(VALU_DEP_1)
	v_add_co_ci_u32_e64 v102, s0, v63, v51, s0
	s_clause 0x7
	global_load_b128 v[76:79], v[18:19], off
	global_load_b128 v[52:55], v[44:45], off
	;; [unrolled: 1-line block ×8, first 2 shown]
.LBB0_13:
	s_or_b32 exec_lo, exec_lo, s1
	v_add_f64 v[121:122], v[72:73], v[12:13]
	v_add_f64 v[123:124], v[74:75], v[14:15]
	v_add_f64 v[125:126], v[8:9], v[32:33]
	v_add_f64 v[127:128], v[10:11], v[34:35]
	s_waitcnt vmcnt(10)
	v_add_f64 v[137:138], v[0:1], v[32:33]
	v_add_f64 v[139:140], v[26:27], v[42:43]
	;; [unrolled: 1-line block ×6, first 2 shown]
	s_waitcnt vmcnt(2)
	v_add_f64 v[151:152], v[44:45], v[56:57]
	v_add_f64 v[135:136], v[74:75], v[6:7]
	s_waitcnt vmcnt(0)
	v_add_f64 v[153:154], v[52:53], v[20:21]
	v_add_f64 v[143:144], v[2:3], v[34:35]
	v_add_f64 v[109:110], v[74:75], -v[6:7]
	v_add_f64 v[115:116], v[72:73], -v[36:37]
	;; [unrolled: 1-line block ×13, first 2 shown]
	v_add_f64 v[157:158], v[60:61], v[48:49]
	v_add_f64 v[159:160], v[16:17], v[76:77]
	v_add_f64 v[161:162], v[62:63], v[50:51]
	v_add_f64 v[163:164], v[18:19], v[78:79]
	v_add_f64 v[183:184], v[52:53], v[68:69]
	v_add_f64 v[169:170], v[64:65], v[76:77]
	v_add_f64 v[175:176], v[66:67], v[78:79]
	v_add_f64 v[185:186], v[54:55], v[70:71]
	s_mov_b32 s4, 0x134454ff
	v_add_f64 v[167:168], v[40:41], -v[0:1]
	s_mov_b32 s5, 0x3fee6f0e
	v_add_f64 v[36:37], v[36:37], v[121:122]
	v_add_f64 v[38:39], v[38:39], v[123:124]
	;; [unrolled: 1-line block ×6, first 2 shown]
	v_add_f64 v[26:27], v[26:27], -v[42:43]
	v_fma_f64 v[137:138], v[137:138], -0.5, v[8:9]
	v_fma_f64 v[139:140], v[139:140], -0.5, v[10:11]
	;; [unrolled: 1-line block ×6, first 2 shown]
	v_add_f64 v[133:134], v[54:55], -v[22:23]
	v_fma_f64 v[141:142], v[151:152], -0.5, v[68:69]
	v_fma_f64 v[14:15], v[135:136], -0.5, v[14:15]
	v_add_f64 v[135:136], v[58:59], -v[46:47]
	v_fma_f64 v[68:69], v[153:154], -0.5, v[68:69]
	v_add_f64 v[24:25], v[24:25], -v[40:41]
	v_fma_f64 v[10:11], v[143:144], -0.5, v[10:11]
	s_mov_b32 s1, 0xbfee6f0e
	s_mov_b32 s0, s4
	v_add_f64 v[119:120], v[4:5], -v[28:29]
	v_add_f64 v[117:118], v[28:29], -v[4:5]
	;; [unrolled: 1-line block ×7, first 2 shown]
	v_fma_f64 v[151:152], v[157:158], -0.5, v[64:65]
	v_fma_f64 v[64:65], v[159:160], -0.5, v[64:65]
	v_add_f64 v[157:158], v[20:21], -v[44:45]
	v_add_f64 v[159:160], v[52:53], -v[20:21]
	v_fma_f64 v[153:154], v[161:162], -0.5, v[66:67]
	v_fma_f64 v[66:67], v[163:164], -0.5, v[66:67]
	v_add_f64 v[177:178], v[78:79], -v[18:19]
	v_add_f64 v[143:144], v[78:79], -v[62:63]
	v_add_f64 v[161:162], v[62:63], v[175:176]
	v_add_f64 v[28:29], v[28:29], v[36:37]
	;; [unrolled: 1-line block ×5, first 2 shown]
	v_fma_f64 v[42:43], v[125:126], -0.5, v[70:71]
	v_fma_f64 v[70:71], v[127:128], -0.5, v[70:71]
	v_add_f64 v[123:124], v[52:53], -v[56:57]
	v_fma_f64 v[121:122], v[26:27], s[0:1], v[137:138]
	v_fma_f64 v[127:128], v[26:27], s[4:5], v[137:138]
	v_add_f64 v[137:138], v[56:57], -v[44:45]
	v_fma_f64 v[125:126], v[32:33], s[0:1], v[139:140]
	v_fma_f64 v[163:164], v[145:146], s[0:1], v[8:9]
	v_add_f64 v[52:53], v[56:57], -v[52:53]
	v_add_f64 v[56:57], v[56:57], v[183:184]
	v_fma_f64 v[183:184], v[133:134], s[4:5], v[141:142]
	v_add_f64 v[40:41], v[62:63], -v[78:79]
	v_add_f64 v[78:79], v[60:61], v[169:170]
	v_add_f64 v[169:170], v[54:55], -v[58:59]
	v_add_f64 v[54:55], v[58:59], -v[54:55]
	;; [unrolled: 1-line block ×3, first 2 shown]
	v_add_f64 v[58:59], v[58:59], v[185:186]
	v_fma_f64 v[185:186], v[135:136], s[0:1], v[68:69]
	v_fma_f64 v[68:69], v[135:136], s[4:5], v[68:69]
	;; [unrolled: 1-line block ×3, first 2 shown]
	s_mov_b32 s14, 0x4755a5e
	v_fma_f64 v[8:9], v[145:146], s[4:5], v[8:9]
	v_add_f64 v[149:150], v[167:168], v[149:150]
	v_fma_f64 v[167:168], v[24:25], s[0:1], v[10:11]
	v_fma_f64 v[139:140], v[32:33], s[4:5], v[139:140]
	s_mov_b32 s15, 0x3fe2cf23
	s_mov_b32 s11, 0xbfe2cf23
	;; [unrolled: 1-line block ×3, first 2 shown]
	v_add_f64 v[155:156], v[171:172], v[155:156]
	v_add_f64 v[171:172], v[46:47], -v[22:23]
	v_fma_f64 v[10:11], v[24:25], s[4:5], v[10:11]
	v_add_f64 v[147:148], v[165:166], v[147:148]
	v_add_f64 v[165:166], v[22:23], -v[46:47]
	v_add_f64 v[62:63], v[62:63], -v[50:51]
	;; [unrolled: 1-line block ×6, first 2 shown]
	v_add_f64 v[34:35], v[173:174], v[34:35]
	v_fma_f64 v[173:174], v[109:110], s[4:5], v[129:130]
	v_add_f64 v[123:124], v[157:158], v[123:124]
	v_fma_f64 v[121:122], v[145:146], s[14:15], v[121:122]
	v_fma_f64 v[127:128], v[145:146], s[10:11], v[127:128]
	;; [unrolled: 1-line block ×9, first 2 shown]
	v_add_f64 v[76:77], v[76:77], -v[16:17]
	s_mov_b32 s16, 0x372fe950
	v_fma_f64 v[129:130], v[109:110], s[0:1], v[129:130]
	v_add_f64 v[52:53], v[175:176], v[52:53]
	v_add_f64 v[175:176], v[16:17], -v[48:49]
	v_fma_f64 v[185:186], v[133:134], s[14:15], v[185:186]
	v_fma_f64 v[68:69], v[133:134], s[10:11], v[68:69]
	;; [unrolled: 1-line block ×3, first 2 shown]
	v_add_f64 v[135:136], v[48:49], -v[16:17]
	v_fma_f64 v[8:9], v[26:27], s[14:15], v[8:9]
	v_add_f64 v[26:27], v[48:49], v[78:79]
	v_fma_f64 v[48:49], v[32:33], s[14:15], v[167:168]
	v_fma_f64 v[24:25], v[24:25], s[14:15], v[139:140]
	s_mov_b32 s17, 0x3fd3c6ef
	v_add_f64 v[36:37], v[0:1], v[36:37]
	v_fma_f64 v[78:79], v[113:114], s[0:1], v[12:13]
	v_fma_f64 v[12:13], v[113:114], s[4:5], v[12:13]
	v_add_f64 v[28:29], v[4:5], v[28:29]
	v_fma_f64 v[0:1], v[32:33], s[10:11], v[10:11]
	v_add_f64 v[10:11], v[171:172], v[54:55]
	v_add_f64 v[54:55], v[165:166], v[169:170]
	;; [unrolled: 1-line block ×4, first 2 shown]
	v_fma_f64 v[161:162], v[177:178], s[4:5], v[151:152]
	v_add_f64 v[46:47], v[46:47], v[58:59]
	v_fma_f64 v[58:59], v[62:63], s[0:1], v[64:65]
	v_fma_f64 v[64:65], v[62:63], s[4:5], v[64:65]
	v_add_f64 v[115:116], v[119:120], v[115:116]
	v_fma_f64 v[119:120], v[72:73], s[0:1], v[131:132]
	v_fma_f64 v[56:57], v[149:150], s[16:17], v[121:122]
	;; [unrolled: 1-line block ×11, first 2 shown]
	v_add_f64 v[141:142], v[18:19], -v[50:51]
	v_add_f64 v[50:51], v[50:51], -v[18:19]
	v_add_f64 v[111:112], v[117:118], v[111:112]
	v_fma_f64 v[117:118], v[76:77], s[0:1], v[153:154]
	v_fma_f64 v[149:150], v[52:53], s[16:17], v[185:186]
	;; [unrolled: 1-line block ×18, first 2 shown]
	s_mov_b32 s18, 0x9b97f4a8
	s_mov_b32 s19, 0x3fe9e377
	v_add_f64 v[109:110], v[175:176], v[179:180]
	v_fma_f64 v[129:130], v[62:63], s[14:15], v[161:162]
	v_add_f64 v[135:136], v[135:136], v[181:182]
	v_fma_f64 v[58:59], v[177:178], s[14:15], v[58:59]
	v_fma_f64 v[64:65], v[177:178], s[10:11], v[64:65]
	v_mul_f64 v[153:154], v[56:57], s[16:17]
	v_mul_f64 v[155:156], v[121:122], s[16:17]
	v_fma_f64 v[32:33], v[10:11], s[16:17], v[32:33]
	v_mul_f64 v[151:152], v[4:5], s[14:15]
	v_fma_f64 v[125:126], v[54:55], s[16:17], v[125:126]
	v_mul_f64 v[157:158], v[127:128], s[18:19]
	v_fma_f64 v[62:63], v[62:63], s[10:11], v[145:146]
	v_fma_f64 v[42:43], v[54:55], s[16:17], v[42:43]
	v_mul_f64 v[54:55], v[137:138], s[18:19]
	v_fma_f64 v[10:11], v[10:11], s[16:17], v[70:71]
	v_add_f64 v[101:102], v[107:108], v[101:102]
	v_fma_f64 v[107:108], v[103:104], s[10:11], v[119:120]
	v_add_f64 v[74:75], v[105:106], v[74:75]
	v_mul_f64 v[56:57], v[56:57], s[0:1]
	v_mul_f64 v[70:71], v[149:150], s[16:17]
	;; [unrolled: 1-line block ×4, first 2 shown]
	v_fma_f64 v[103:104], v[103:104], s[14:15], v[123:124]
	v_fma_f64 v[117:118], v[60:61], s[10:11], v[117:118]
	;; [unrolled: 1-line block ×5, first 2 shown]
	v_mul_f64 v[119:120], v[8:9], s[10:11]
	v_mul_f64 v[123:124], v[48:49], s[16:17]
	;; [unrolled: 1-line block ×3, first 2 shown]
	v_fma_f64 v[113:114], v[115:116], s[16:17], v[113:114]
	v_add_f64 v[115:116], v[141:142], v[143:144]
	v_add_f64 v[40:41], v[50:51], v[40:41]
	v_fma_f64 v[50:51], v[76:77], s[10:11], v[147:148]
	v_fma_f64 v[66:67], v[76:77], s[14:15], v[66:67]
	v_mul_f64 v[76:77], v[137:138], s[10:11]
	v_mul_f64 v[133:134], v[149:150], s[0:1]
	v_fma_f64 v[78:79], v[111:112], s[16:17], v[78:79]
	v_fma_f64 v[111:112], v[111:112], s[16:17], v[12:13]
	;; [unrolled: 1-line block ×4, first 2 shown]
	v_add_f64 v[44:45], v[20:21], v[44:45]
	v_fma_f64 v[58:59], v[135:136], s[16:17], v[58:59]
	v_fma_f64 v[141:142], v[0:1], s[4:5], v[153:154]
	v_fma_f64 v[48:49], v[48:49], s[4:5], -v[155:156]
	v_mul_f64 v[137:138], v[32:33], s[16:17]
	v_fma_f64 v[60:61], v[8:9], s[18:19], v[151:152]
	v_mul_f64 v[34:35], v[125:126], s[18:19]
	v_fma_f64 v[24:25], v[24:25], s[14:15], -v[157:158]
	v_fma_f64 v[62:63], v[109:110], s[16:17], v[62:63]
	v_add_f64 v[109:110], v[16:17], v[26:27]
	v_fma_f64 v[54:55], v[42:43], s[14:15], v[54:55]
	v_fma_f64 v[64:65], v[135:136], s[16:17], v[64:65]
	v_add_f64 v[135:136], v[6:7], v[30:31]
	v_add_f64 v[143:144], v[2:3], v[38:39]
	v_fma_f64 v[107:108], v[101:102], s[16:17], v[107:108]
	v_add_f64 v[46:47], v[22:23], v[46:47]
	v_fma_f64 v[70:71], v[10:11], s[4:5], v[70:71]
	v_fma_f64 v[32:33], v[32:33], s[4:5], -v[145:146]
	v_fma_f64 v[125:126], v[125:126], s[14:15], -v[159:160]
	v_fma_f64 v[101:102], v[101:102], s[16:17], v[103:104]
	s_load_b64 s[2:3], s[2:3], 0x0
	v_fma_f64 v[103:104], v[74:75], s[16:17], v[105:106]
	v_fma_f64 v[74:75], v[74:75], s[16:17], v[14:15]
	;; [unrolled: 1-line block ×3, first 2 shown]
	v_fma_f64 v[121:122], v[121:122], s[0:1], -v[123:124]
	v_fma_f64 v[123:124], v[127:128], s[10:11], -v[131:132]
	v_fma_f64 v[119:120], v[0:1], s[16:17], v[56:57]
	v_add_f64 v[127:128], v[18:19], v[139:140]
	v_fma_f64 v[117:118], v[115:116], s[16:17], v[117:118]
	v_fma_f64 v[131:132], v[40:41], s[16:17], v[50:51]
	;; [unrolled: 1-line block ×5, first 2 shown]
	v_add_f64 v[0:1], v[36:37], v[28:29]
	v_add_f64 v[10:11], v[28:29], -v[36:37]
	v_fma_f64 v[115:116], v[115:116], s[16:17], v[12:13]
	v_mul_i32_i24_e32 v43, 10, v93
	v_add_f64 v[4:5], v[78:79], v[141:142]
	v_add_f64 v[6:7], v[111:112], v[48:49]
	v_fma_f64 v[137:138], v[52:53], s[0:1], -v[137:138]
	v_add_f64 v[2:3], v[72:73], v[60:61]
	v_fma_f64 v[147:148], v[68:69], s[10:11], -v[34:35]
	v_add_f64 v[8:9], v[113:114], v[24:25]
	v_add_f64 v[12:13], v[72:73], -v[60:61]
	v_add_f64 v[14:15], v[78:79], -v[141:142]
	;; [unrolled: 1-line block ×4, first 2 shown]
	v_add_f64 v[20:21], v[109:110], v[44:45]
	v_add_f64 v[22:23], v[129:130], v[54:55]
	v_add_f64 v[30:31], v[109:110], -v[44:45]
	v_add_f64 v[35:36], v[129:130], -v[54:55]
	v_add_f64 v[24:25], v[58:59], v[70:71]
	v_add_f64 v[26:27], v[64:65], v[32:33]
	;; [unrolled: 1-line block ×3, first 2 shown]
	v_add_f64 v[37:38], v[58:59], -v[70:71]
	v_add_f64 v[39:40], v[64:65], -v[32:33]
	;; [unrolled: 1-line block ×3, first 2 shown]
	v_mul_u32_u24_e32 v32, 0x140, v81
	v_add_f64 v[48:49], v[143:144], v[135:136]
	v_add_f64 v[50:51], v[107:108], v[105:106]
	v_add_f64 v[64:65], v[74:75], -v[121:122]
	v_add_f64 v[66:67], v[101:102], -v[123:124]
	v_lshlrev_b32_e32 v34, 3, v32
	v_mul_u32_u24_e32 v32, 10, v80
	v_add_f64 v[52:53], v[103:104], v[119:120]
	v_add_f64 v[54:55], v[74:75], v[121:122]
	;; [unrolled: 1-line block ×3, first 2 shown]
	v_add_nc_u32_e32 v33, 0, v34
	v_add_f64 v[70:71], v[117:118], v[145:146]
	v_add_f64 v[56:57], v[101:102], v[123:124]
	v_add_f64 v[58:59], v[135:136], -v[143:144]
	v_add_f64 v[72:73], v[131:132], v[133:134]
	v_lshl_add_u32 v44, v32, 3, v33
	v_add_f64 v[60:61], v[107:108], -v[105:106]
	v_add_f64 v[62:63], v[103:104], -v[119:120]
	;; [unrolled: 1-line block ×4, first 2 shown]
	v_add_f64 v[74:75], v[139:140], v[137:138]
	v_add_f64 v[103:104], v[131:132], -v[133:134]
	v_add_f64 v[76:77], v[115:116], v[147:148]
	v_add_f64 v[118:119], v[139:140], -v[137:138]
	v_add_f64 v[120:121], v[115:116], -v[147:148]
	v_lshl_add_u32 v81, v43, 3, v33
	ds_store_b128 v44, v[0:3]
	ds_store_b128 v44, v[4:7] offset:16
	ds_store_b128 v44, v[8:11] offset:32
	;; [unrolled: 1-line block ×4, first 2 shown]
	ds_store_b128 v81, v[20:23]
	ds_store_b128 v81, v[24:27] offset:16
	v_and_b32_e32 v16, 0xff, v93
	v_lshlrev_b32_e32 v0, 3, v80
	v_lshl_add_u32 v107, v97, 3, v33
	v_lshl_add_u32 v109, v91, 3, v33
	;; [unrolled: 1-line block ×3, first 2 shown]
	v_mul_lo_u16 v32, 0xcd, v16
	v_add_nc_u32_e32 v106, v33, v0
	v_lshl_add_u32 v112, v100, 3, v33
	v_lshl_add_u32 v114, v95, 3, v33
	;; [unrolled: 1-line block ×5, first 2 shown]
	v_and_b32_e32 v33, 0xff, v86
	v_lshrrev_b16 v45, 11, v32
	ds_store_b128 v81, v[28:31] offset:32
	ds_store_b128 v81, v[35:38] offset:48
	;; [unrolled: 1-line block ×3, first 2 shown]
	v_add_nc_u32_e32 v35, -10, v80
	v_cmp_gt_u32_e64 s0, 10, v80
	v_mul_lo_u16 v36, 0xcd, v33
	v_mul_lo_u16 v43, v45, 10
	v_add3_u32 v110, 0, v0, v34
	v_mad_i32_i24 v108, 0xffffffb8, v93, v81
	v_cndmask_b32_e64 v47, v35, v80, s0
	v_lshrrev_b16 v46, 11, v36
	v_sub_nc_u16 v35, v93, v43
	v_add_nc_u32_e32 v113, 0x800, v110
	s_waitcnt lgkmcnt(0)
	s_barrier
	v_mul_lo_u16 v36, v46, 10
	v_and_b32_e32 v43, 0xff, v35
	buffer_gl0_inv
	ds_load_2addr_b64 v[4:7], v110 offset0:160 offset1:176
	ds_load_2addr_b64 v[0:3], v110 offset0:224 offset1:240
	ds_load_b64 v[20:21], v106
	ds_load_b64 v[26:27], v107
	;; [unrolled: 1-line block ×4, first 2 shown]
	ds_load_2addr_b64 v[12:15], v113 offset1:16
	v_sub_nc_u16 v35, v86, v36
	v_mul_u32_u24_e32 v36, 3, v43
	ds_load_2addr_b64 v[8:11], v110 offset0:192 offset1:208
	ds_load_b64 v[28:29], v111
	ds_load_b64 v[37:38], v112
	;; [unrolled: 1-line block ×4, first 2 shown]
	ds_load_2addr_b64 v[16:19], v113 offset0:32 offset1:48
	ds_load_b64 v[32:33], v116
	ds_load_b64 v[41:42], v117
	s_waitcnt lgkmcnt(0)
	s_barrier
	buffer_gl0_inv
	ds_store_b128 v44, v[48:51]
	ds_store_b128 v44, v[52:55] offset:16
	ds_store_b128 v44, v[56:59] offset:32
	;; [unrolled: 1-line block ×4, first 2 shown]
	ds_store_b128 v81, v[68:71]
	ds_store_b128 v81, v[72:75] offset:16
	v_and_b32_e32 v44, 0xff, v35
	ds_store_b128 v81, v[76:79] offset:32
	ds_store_b128 v81, v[101:104] offset:48
	;; [unrolled: 1-line block ×3, first 2 shown]
	v_lshlrev_b32_e32 v79, 4, v36
	v_and_b32_e32 v36, 0xff, v95
	s_waitcnt lgkmcnt(0)
	v_mul_u32_u24_e32 v35, 3, v44
	s_barrier
	buffer_gl0_inv
	global_load_b128 v[51:54], v79, s[8:9] offset:32
	v_mul_lo_u16 v48, 0xcd, v36
	v_lshlrev_b32_e32 v81, 4, v35
	v_mul_i32_i24_e32 v35, 3, v47
	v_dual_mov_b32 v36, 0 :: v_dual_and_b32 v49, 0xff, v88
	s_delay_alu instid0(VALU_DEP_4)
	v_lshrrev_b16 v48, 11, v48
	global_load_b128 v[55:58], v81, s[8:9] offset:32
	v_and_b32_e32 v45, 0xffff, v45
	v_mul_lo_u16 v59, 0xcd, v49
	v_lshlrev_b64 v[49:50], 4, v[35:36]
	v_mul_lo_u16 v60, v48, 10
	v_lshlrev_b32_e32 v47, 3, v47
	v_mad_u32_u24 v94, 0x140, v45, 0
	v_lshrrev_b16 v35, 11, v59
	v_add_co_u32 v122, s0, s8, v49
	s_delay_alu instid0(VALU_DEP_1) | instskip(SKIP_1) | instid1(VALU_DEP_4)
	v_add_co_ci_u32_e64 v123, s0, s9, v50, s0
	v_sub_nc_u16 v50, v95, v60
	v_mul_lo_u16 v49, v35, 10
	v_cmp_lt_u32_e64 s0, 9, v80
	global_load_b128 v[59:62], v[122:123], off
	v_sub_nc_u16 v63, v88, v49
	v_and_b32_e32 v49, 0xff, v50
	s_delay_alu instid0(VALU_DEP_2) | instskip(NEXT) | instid1(VALU_DEP_2)
	v_and_b32_e32 v50, 0xff, v63
	v_mul_u32_u24_e32 v67, 3, v49
	global_load_b128 v[63:66], v[122:123], off offset:16
	v_mul_u32_u24_e32 v71, 3, v50
	v_lshlrev_b32_e32 v87, 4, v67
	global_load_b128 v[67:70], v79, s[8:9] offset:16
	v_lshlrev_b32_e32 v89, 4, v71
	s_clause 0x9
	global_load_b128 v[71:74], v87, s[8:9] offset:32
	global_load_b128 v[75:78], v89, s[8:9] offset:32
	;; [unrolled: 1-line block ×4, first 2 shown]
	global_load_b128 v[122:125], v[122:123], off offset:32
	global_load_b128 v[126:129], v89, s[8:9] offset:16
	global_load_b128 v[130:133], v79, s[8:9]
	global_load_b128 v[134:137], v81, s[8:9]
	;; [unrolled: 1-line block ×4, first 2 shown]
	ds_load_2addr_b64 v[146:149], v113 offset1:16
	ds_load_b64 v[168:169], v107
	ds_load_2addr_b64 v[150:153], v110 offset0:160 offset1:176
	ds_load_2addr_b64 v[154:157], v113 offset0:32 offset1:48
	ds_load_b64 v[172:173], v108
	ds_load_b64 v[174:175], v106
	ds_load_2addr_b64 v[158:161], v110 offset0:192 offset1:208
	ds_load_2addr_b64 v[162:165], v110 offset0:224 offset1:240
	ds_load_b64 v[182:183], v109
	v_add_nc_u32_e32 v79, -8, v80
	v_and_b32_e32 v87, 0xffff, v48
	v_and_b32_e32 v89, 0xffff, v35
	v_mul_i32_i24_e32 v35, 3, v93
	s_waitcnt vmcnt(14) lgkmcnt(8)
	v_mul_f64 v[166:167], v[146:147], v[53:54]
	v_mul_f64 v[53:54], v[12:13], v[53:54]
	s_waitcnt vmcnt(13)
	v_mul_f64 v[170:171], v[148:149], v[57:58]
	v_mul_f64 v[57:58], v[14:15], v[57:58]
	s_waitcnt vmcnt(12) lgkmcnt(7)
	v_mul_f64 v[176:177], v[168:169], v[61:62]
	v_mul_f64 v[61:62], v[26:27], v[61:62]
	s_waitcnt vmcnt(11) lgkmcnt(6)
	v_mul_f64 v[178:179], v[150:151], v[65:66]
	v_mul_f64 v[65:66], v[4:5], v[65:66]
	v_fma_f64 v[12:13], v[12:13], v[51:52], -v[166:167]
	v_fma_f64 v[51:52], v[146:147], v[51:52], v[53:54]
	s_waitcnt vmcnt(9) lgkmcnt(5)
	v_mul_f64 v[53:54], v[154:155], v[73:74]
	v_mul_f64 v[73:74], v[16:17], v[73:74]
	;; [unrolled: 1-line block ×3, first 2 shown]
	s_waitcnt vmcnt(8)
	v_mul_f64 v[146:147], v[156:157], v[77:78]
	s_waitcnt vmcnt(7) lgkmcnt(2)
	v_mul_f64 v[166:167], v[158:159], v[103:104]
	v_fma_f64 v[14:15], v[14:15], v[55:56], -v[170:171]
	v_fma_f64 v[55:56], v[148:149], v[55:56], v[57:58]
	s_waitcnt vmcnt(6)
	v_mul_f64 v[57:58], v[160:161], v[120:121]
	s_waitcnt vmcnt(4) lgkmcnt(1)
	v_mul_f64 v[170:171], v[162:163], v[128:129]
	v_mul_f64 v[148:149], v[164:165], v[124:125]
	;; [unrolled: 1-line block ×3, first 2 shown]
	v_fma_f64 v[26:27], v[26:27], v[59:60], -v[176:177]
	ds_load_b64 v[176:177], v112
	v_fma_f64 v[59:60], v[168:169], v[59:60], v[61:62]
	ds_load_b64 v[61:62], v115
	ds_load_b64 v[168:169], v117
	;; [unrolled: 1-line block ×3, first 2 shown]
	v_fma_f64 v[4:5], v[4:5], v[63:64], -v[178:179]
	v_fma_f64 v[63:64], v[150:151], v[63:64], v[65:66]
	ds_load_b64 v[65:66], v111
	ds_load_b64 v[150:151], v116
	s_waitcnt vmcnt(0) lgkmcnt(0)
	s_barrier
	buffer_gl0_inv
	v_fma_f64 v[16:17], v[16:17], v[71:72], -v[53:54]
	v_fma_f64 v[53:54], v[154:155], v[71:72], v[73:74]
	v_mul_f64 v[71:72], v[182:183], v[132:133]
	v_fma_f64 v[178:179], v[6:7], v[67:68], -v[180:181]
	v_mul_f64 v[6:7], v[6:7], v[69:70]
	v_mul_f64 v[69:70], v[18:19], v[77:78]
	;; [unrolled: 1-line block ×4, first 2 shown]
	v_fma_f64 v[57:58], v[10:11], v[118:119], -v[57:58]
	v_mul_f64 v[10:11], v[10:11], v[120:121]
	v_mul_f64 v[120:121], v[2:3], v[124:125]
	v_fma_f64 v[124:125], v[0:1], v[126:127], -v[170:171]
	v_mul_f64 v[0:1], v[0:1], v[128:129]
	v_mul_f64 v[128:129], v[168:169], v[144:145]
	v_fma_f64 v[2:3], v[2:3], v[122:123], -v[148:149]
	v_fma_f64 v[18:19], v[18:19], v[75:76], -v[146:147]
	;; [unrolled: 1-line block ×3, first 2 shown]
	v_add_f64 v[4:5], v[20:21], -v[4:5]
	v_add_f64 v[63:64], v[174:175], -v[63:64]
	v_fma_f64 v[71:72], v[24:25], v[130:131], -v[71:72]
	v_mul_f64 v[24:25], v[24:25], v[132:133]
	v_fma_f64 v[6:7], v[152:153], v[67:68], v[6:7]
	v_fma_f64 v[69:70], v[156:157], v[75:76], v[69:70]
	v_fma_f64 v[73:74], v[37:38], v[134:135], -v[73:74]
	v_mul_f64 v[37:38], v[37:38], v[136:137]
	v_fma_f64 v[77:78], v[39:40], v[138:139], -v[77:78]
	v_mul_f64 v[39:40], v[39:40], v[140:141]
	v_fma_f64 v[120:121], v[164:165], v[122:123], v[120:121]
	v_fma_f64 v[10:11], v[160:161], v[118:119], v[10:11]
	;; [unrolled: 1-line block ×3, first 2 shown]
	v_fma_f64 v[128:129], v[41:42], v[142:143], -v[128:129]
	v_mul_f64 v[41:42], v[41:42], v[144:145]
	v_add_f64 v[2:3], v[26:27], -v[2:3]
	v_add_f64 v[57:58], v[30:31], -v[57:58]
	v_add_f64 v[8:9], v[28:29], -v[8:9]
	v_add_f64 v[75:76], v[32:33], -v[124:125]
	v_add_f64 v[67:68], v[22:23], -v[178:179]
	v_fma_f64 v[20:21], v[20:21], 2.0, -v[4:5]
	v_add_f64 v[12:13], v[71:72], -v[12:13]
	v_fma_f64 v[24:25], v[182:183], v[130:131], v[24:25]
	v_add_f64 v[6:7], v[172:173], -v[6:7]
	v_add_f64 v[14:15], v[73:74], -v[14:15]
	v_fma_f64 v[37:38], v[176:177], v[134:135], v[37:38]
	v_add_f64 v[16:17], v[77:78], -v[16:17]
	v_fma_f64 v[39:40], v[61:62], v[138:139], v[39:40]
	v_fma_f64 v[61:62], v[158:159], v[101:102], v[103:104]
	v_add_f64 v[101:102], v[59:60], -v[120:121]
	v_add_f64 v[10:11], v[184:185], -v[10:11]
	;; [unrolled: 1-line block ×3, first 2 shown]
	v_fma_f64 v[41:42], v[168:169], v[142:143], v[41:42]
	v_add_f64 v[103:104], v[150:151], -v[0:1]
	v_fma_f64 v[0:1], v[26:27], 2.0, -v[2:3]
	v_fma_f64 v[30:31], v[30:31], 2.0, -v[57:58]
	;; [unrolled: 1-line block ×7, first 2 shown]
	v_add_f64 v[51:52], v[24:25], -v[51:52]
	v_fma_f64 v[71:72], v[73:74], 2.0, -v[14:15]
	v_add_f64 v[55:56], v[37:38], -v[55:56]
	v_fma_f64 v[73:74], v[77:78], 2.0, -v[16:17]
	v_add_f64 v[53:54], v[39:40], -v[53:54]
	v_add_f64 v[61:62], v[65:66], -v[61:62]
	v_fma_f64 v[59:60], v[59:60], 2.0, -v[101:102]
	v_add_f64 v[118:119], v[4:5], -v[101:102]
	v_fma_f64 v[77:78], v[128:129], 2.0, -v[18:19]
	;; [unrolled: 2-line block ×3, first 2 shown]
	v_fma_f64 v[124:125], v[150:151], 2.0, -v[103:104]
	v_add_f64 v[126:127], v[20:21], -v[0:1]
	v_cndmask_b32_e64 v1, 0, 0x140, s0
	v_mul_u32_u24_e32 v0, 3, v80
	v_cmp_gt_u32_e64 s0, 40, v86
	v_add_f64 v[130:131], v[10:11], v[16:17]
	v_add_f64 v[132:133], v[103:104], v[18:19]
	v_add_nc_u32_e32 v1, 0, v1
	v_lshlrev_b32_e32 v81, 4, v0
	v_cndmask_b32_e64 v0, v79, v86, s0
	v_and_b32_e32 v79, 0xffff, v46
	v_add_f64 v[45:46], v[63:64], v[2:3]
	v_add3_u32 v92, v1, v47, v34
	v_add_f64 v[47:48], v[6:7], v[12:13]
	v_add_f64 v[26:27], v[22:23], -v[26:27]
	v_add_f64 v[101:102], v[67:68], -v[51:52]
	v_fma_f64 v[24:25], v[24:25], 2.0, -v[51:52]
	v_fma_f64 v[51:52], v[172:173], 2.0, -v[6:7]
	v_add_f64 v[71:72], v[28:29], -v[71:72]
	v_fma_f64 v[37:38], v[37:38], 2.0, -v[55:56]
	v_add_f64 v[73:74], v[30:31], -v[73:74]
	v_fma_f64 v[39:40], v[39:40], 2.0, -v[53:54]
	v_fma_f64 v[65:66], v[65:66], 2.0, -v[61:62]
	v_add_f64 v[59:60], v[120:121], -v[59:60]
	v_add_f64 v[55:56], v[8:9], -v[55:56]
	;; [unrolled: 1-line block ×3, first 2 shown]
	v_fma_f64 v[41:42], v[41:42], 2.0, -v[69:70]
	v_add_f64 v[128:129], v[61:62], v[14:15]
	v_add_f64 v[53:54], v[57:58], -v[53:54]
	v_add_f64 v[69:70], v[75:76], -v[69:70]
	v_fma_f64 v[12:13], v[20:21], 2.0, -v[126:127]
	v_fma_f64 v[1:2], v[4:5], 2.0, -v[118:119]
	v_mad_u32_u24 v5, 0x140, v79, 0
	ds_store_2addr_b64 v92, v[126:127], v[118:119] offset0:20 offset1:30
	v_fma_f64 v[14:15], v[22:23], 2.0, -v[26:27]
	v_fma_f64 v[3:4], v[67:68], 2.0, -v[101:102]
	v_add_f64 v[24:25], v[51:52], -v[24:25]
	v_fma_f64 v[16:17], v[28:29], 2.0, -v[71:72]
	v_fma_f64 v[20:21], v[30:31], 2.0, -v[73:74]
	v_add_f64 v[39:40], v[122:123], -v[39:40]
	v_add_f64 v[37:38], v[65:66], -v[37:38]
	v_lshlrev_b64 v[30:31], 4, v[35:36]
	v_lshlrev_b32_e32 v35, 3, v43
	v_fma_f64 v[28:29], v[32:33], 2.0, -v[77:78]
	v_add_f64 v[41:42], v[124:125], -v[41:42]
	v_mad_u32_u24 v33, 0x140, v89, 0
	v_lshlrev_b32_e32 v43, 3, v44
	v_lshlrev_b32_e32 v44, 3, v49
	;; [unrolled: 1-line block ×3, first 2 shown]
	v_mad_u32_u24 v32, 0x140, v87, 0
	v_add_co_u32 v67, s0, s8, v30
	s_delay_alu instid0(VALU_DEP_1) | instskip(NEXT) | instid1(VALU_DEP_4)
	v_add_co_ci_u32_e64 v68, s0, s9, v31, s0
	v_add3_u32 v89, v33, v49, v34
	v_fma_f64 v[30:31], v[63:64], 2.0, -v[45:46]
	v_fma_f64 v[49:50], v[120:121], 2.0, -v[59:60]
	v_add3_u32 v87, v32, v44, v34
	v_fma_f64 v[32:33], v[6:7], 2.0, -v[47:48]
	v_fma_f64 v[8:9], v[8:9], 2.0, -v[55:56]
	;; [unrolled: 3-line block ×3, first 2 shown]
	v_fma_f64 v[57:58], v[10:11], 2.0, -v[130:131]
	v_fma_f64 v[22:23], v[75:76], 2.0, -v[69:70]
	;; [unrolled: 1-line block ×3, first 2 shown]
	v_add3_u32 v35, v94, v35, v34
	ds_store_2addr_b64 v92, v[12:13], v[1:2] offset1:10
	ds_store_2addr_b64 v35, v[14:15], v[3:4] offset1:10
	ds_store_2addr_b64 v35, v[26:27], v[101:102] offset0:20 offset1:30
	ds_store_2addr_b64 v79, v[16:17], v[8:9] offset1:10
	ds_store_2addr_b64 v79, v[71:72], v[55:56] offset0:20 offset1:30
	ds_store_2addr_b64 v87, v[20:21], v[18:19] offset1:10
	ds_store_2addr_b64 v87, v[73:74], v[53:54] offset0:20 offset1:30
	ds_store_2addr_b64 v89, v[28:29], v[22:23] offset1:10
	ds_store_2addr_b64 v89, v[77:78], v[69:70] offset0:20 offset1:30
	v_fma_f64 v[51:52], v[51:52], 2.0, -v[24:25]
	v_fma_f64 v[63:64], v[65:66], 2.0, -v[37:38]
	;; [unrolled: 1-line block ×4, first 2 shown]
	s_waitcnt lgkmcnt(0)
	s_barrier
	buffer_gl0_inv
	ds_load_2addr_b64 v[1:4], v110 offset0:160 offset1:176
	ds_load_2addr_b64 v[5:8], v110 offset0:224 offset1:240
	ds_load_b64 v[77:78], v106
	ds_load_b64 v[142:143], v107
	;; [unrolled: 1-line block ×10, first 2 shown]
	ds_load_2addr_b64 v[9:12], v113 offset1:16
	ds_load_2addr_b64 v[13:16], v110 offset0:192 offset1:208
	ds_load_2addr_b64 v[17:20], v113 offset0:32 offset1:48
	s_waitcnt lgkmcnt(0)
	s_barrier
	buffer_gl0_inv
	ds_store_2addr_b64 v92, v[49:50], v[30:31] offset1:10
	ds_store_2addr_b64 v92, v[59:60], v[45:46] offset0:20 offset1:30
	ds_store_2addr_b64 v35, v[51:52], v[32:33] offset1:10
	ds_store_2addr_b64 v35, v[24:25], v[47:48] offset0:20 offset1:30
	ds_store_2addr_b64 v79, v[63:64], v[43:44] offset1:10
	ds_store_2addr_b64 v79, v[37:38], v[128:129] offset0:20 offset1:30
	ds_store_2addr_b64 v87, v[65:66], v[57:58] offset1:10
	ds_store_2addr_b64 v87, v[39:40], v[130:131] offset0:20 offset1:30
	ds_store_2addr_b64 v89, v[75:76], v[61:62] offset1:10
	ds_store_2addr_b64 v89, v[41:42], v[132:133] offset0:20 offset1:30
	v_mul_i32_i24_e32 v35, 3, v0
	s_waitcnt lgkmcnt(0)
	s_barrier
	buffer_gl0_inv
	s_clause 0x1
	global_load_b128 v[21:24], v81, s[8:9] offset:496
	global_load_b128 v[25:28], v[67:68], off offset:496
	v_lshlrev_b64 v[37:38], 4, v[35:36]
	global_load_b128 v[29:32], v[67:68], off offset:512
	v_lshlrev_b32_e32 v0, 3, v0
	v_add_co_u32 v65, s0, s8, v37
	s_delay_alu instid0(VALU_DEP_1)
	v_add_co_ci_u32_e64 v66, s0, s9, v38, s0
	s_clause 0xb
	global_load_b128 v[37:40], v[65:66], off offset:512
	global_load_b128 v[41:44], v[65:66], off offset:496
	global_load_b128 v[45:48], v81, s[8:9] offset:880
	global_load_b128 v[49:52], v81, s[8:9] offset:512
	;; [unrolled: 1-line block ×4, first 2 shown]
	global_load_b128 v[61:64], v[67:68], off offset:480
	global_load_b128 v[65:68], v[65:66], off offset:480
	global_load_b128 v[69:72], v81, s[8:9] offset:864
	global_load_b128 v[73:76], v81, s[8:9] offset:896
	;; [unrolled: 1-line block ×4, first 2 shown]
	ds_load_2addr_b64 v[122:125], v110 offset0:160 offset1:176
	ds_load_2addr_b64 v[126:129], v113 offset1:16
	ds_load_2addr_b64 v[130:133], v110 offset0:192 offset1:208
	ds_load_2addr_b64 v[134:137], v110 offset0:224 offset1:240
	ds_load_b64 v[168:169], v107
	ds_load_b64 v[170:171], v109
	;; [unrolled: 1-line block ×4, first 2 shown]
	ds_load_2addr_b64 v[138:141], v113 offset0:32 offset1:48
	ds_load_b64 v[176:177], v117
	ds_load_b64 v[178:179], v108
	v_cmp_lt_u32_e64 s0, 39, v86
	s_delay_alu instid0(VALU_DEP_1) | instskip(NEXT) | instid1(VALU_DEP_1)
	v_cndmask_b32_e64 v33, 0, 0x500, s0
	v_add_nc_u32_e32 v33, 0, v33
	s_delay_alu instid0(VALU_DEP_1)
	v_add3_u32 v35, v33, v0, v34
	s_waitcnt vmcnt(14) lgkmcnt(10)
	v_mul_f64 v[160:161], v[122:123], v[23:24]
	v_mul_f64 v[23:24], v[1:2], v[23:24]
	s_waitcnt vmcnt(13)
	v_mul_f64 v[162:163], v[124:125], v[27:28]
	v_mul_f64 v[27:28], v[3:4], v[27:28]
	s_waitcnt vmcnt(12) lgkmcnt(9)
	v_mul_f64 v[164:165], v[126:127], v[31:32]
	v_mul_f64 v[31:32], v[9:10], v[31:32]
	s_waitcnt vmcnt(11)
	v_mul_f64 v[166:167], v[128:129], v[39:40]
	v_mul_f64 v[39:40], v[11:12], v[39:40]
	s_waitcnt vmcnt(10) lgkmcnt(8)
	v_mul_f64 v[180:181], v[130:131], v[43:44]
	s_waitcnt vmcnt(9)
	v_mul_f64 v[182:183], v[132:133], v[47:48]
	s_waitcnt vmcnt(5) lgkmcnt(5)
	v_mul_f64 v[184:185], v[170:171], v[63:64]
	s_waitcnt vmcnt(4) lgkmcnt(4)
	v_mul_f64 v[186:187], v[172:173], v[67:68]
	v_mul_f64 v[43:44], v[13:14], v[43:44]
	;; [unrolled: 1-line block ×5, first 2 shown]
	v_fma_f64 v[1:2], v[1:2], v[21:22], -v[160:161]
	v_fma_f64 v[21:22], v[122:123], v[21:22], v[23:24]
	v_mul_f64 v[122:123], v[136:137], v[51:52]
	v_fma_f64 v[3:4], v[3:4], v[25:26], -v[162:163]
	v_fma_f64 v[25:26], v[124:125], v[25:26], v[27:28]
	v_mul_f64 v[27:28], v[168:169], v[59:60]
	v_mul_f64 v[160:161], v[134:135], v[55:56]
	v_fma_f64 v[9:10], v[9:10], v[29:30], -v[164:165]
	v_fma_f64 v[29:30], v[126:127], v[29:30], v[31:32]
	s_waitcnt vmcnt(3) lgkmcnt(3)
	v_mul_f64 v[31:32], v[174:175], v[71:72]
	v_fma_f64 v[11:12], v[11:12], v[37:38], -v[166:167]
	s_waitcnt vmcnt(2) lgkmcnt(2)
	v_mul_f64 v[164:165], v[138:139], v[75:76]
	s_waitcnt vmcnt(1)
	v_mul_f64 v[166:167], v[140:141], v[103:104]
	v_fma_f64 v[37:38], v[128:129], v[37:38], v[39:40]
	s_waitcnt vmcnt(0) lgkmcnt(1)
	v_mul_f64 v[39:40], v[176:177], v[120:121]
	v_mul_f64 v[51:52], v[7:8], v[51:52]
	;; [unrolled: 1-line block ×8, first 2 shown]
	v_fma_f64 v[13:14], v[13:14], v[41:42], -v[180:181]
	v_fma_f64 v[128:129], v[150:151], v[65:66], -v[186:187]
	;; [unrolled: 1-line block ×3, first 2 shown]
	v_fma_f64 v[41:42], v[130:131], v[41:42], v[43:44]
	v_fma_f64 v[45:46], v[132:133], v[45:46], v[47:48]
	;; [unrolled: 1-line block ×3, first 2 shown]
	ds_load_b64 v[23:24], v106
	ds_load_b64 v[162:163], v114
	;; [unrolled: 1-line block ×4, first 2 shown]
	s_waitcnt lgkmcnt(0)
	s_barrier
	buffer_gl0_inv
	v_add_f64 v[1:2], v[77:78], -v[1:2]
	v_fma_f64 v[7:8], v[7:8], v[49:50], -v[122:123]
	v_fma_f64 v[122:123], v[146:147], v[61:62], -v[184:185]
	v_add_f64 v[3:4], v[144:145], -v[3:4]
	v_fma_f64 v[27:28], v[142:143], v[57:58], -v[27:28]
	v_fma_f64 v[5:6], v[5:6], v[53:54], -v[160:161]
	v_add_f64 v[25:26], v[178:179], -v[25:26]
	v_fma_f64 v[31:32], v[154:155], v[69:70], -v[31:32]
	v_add_f64 v[21:22], v[23:24], -v[21:22]
	v_fma_f64 v[17:18], v[17:18], v[73:74], -v[164:165]
	v_fma_f64 v[19:20], v[19:20], v[101:102], -v[166:167]
	;; [unrolled: 1-line block ×3, first 2 shown]
	v_fma_f64 v[43:44], v[136:137], v[49:50], v[51:52]
	v_fma_f64 v[49:50], v[168:169], v[57:58], v[59:60]
	;; [unrolled: 1-line block ×8, first 2 shown]
	v_add_f64 v[13:14], v[148:149], -v[13:14]
	v_add_f64 v[11:12], v[128:129], -v[11:12]
	;; [unrolled: 1-line block ×6, first 2 shown]
	v_fma_f64 v[63:64], v[77:78], 2.0, -v[1:2]
	v_add_f64 v[9:10], v[122:123], -v[9:10]
	v_fma_f64 v[65:66], v[144:145], 2.0, -v[3:4]
	v_add_f64 v[7:8], v[27:28], -v[7:8]
	v_add_f64 v[5:6], v[156:157], -v[5:6]
	v_fma_f64 v[77:78], v[178:179], 2.0, -v[25:26]
	v_fma_f64 v[23:24], v[23:24], 2.0, -v[21:22]
	v_add_f64 v[17:18], v[31:32], -v[17:18]
	v_add_f64 v[19:20], v[39:40], -v[19:20]
	;; [unrolled: 1-line block ×7, first 2 shown]
	v_fma_f64 v[69:70], v[148:149], 2.0, -v[13:14]
	v_fma_f64 v[71:72], v[128:129], 2.0, -v[11:12]
	;; [unrolled: 1-line block ×6, first 2 shown]
	v_add_f64 v[29:30], v[3:4], -v[29:30]
	v_add_f64 v[124:125], v[41:42], v[11:12]
	v_fma_f64 v[67:68], v[122:123], 2.0, -v[9:10]
	v_add_f64 v[122:123], v[25:26], v[9:10]
	v_fma_f64 v[27:28], v[27:28], 2.0, -v[7:8]
	v_fma_f64 v[75:76], v[156:157], 2.0, -v[5:6]
	v_add_f64 v[120:121], v[21:22], v[7:8]
	v_fma_f64 v[31:32], v[31:32], 2.0, -v[17:18]
	v_fma_f64 v[39:40], v[39:40], 2.0, -v[19:20]
	;; [unrolled: 1-line block ×3, first 2 shown]
	v_add_f64 v[43:44], v[1:2], -v[43:44]
	v_fma_f64 v[53:54], v[53:54], 2.0, -v[37:38]
	v_fma_f64 v[118:119], v[126:127], 2.0, -v[51:52]
	v_fma_f64 v[57:58], v[57:58], 2.0, -v[55:56]
	v_add_f64 v[37:38], v[13:14], -v[37:38]
	v_fma_f64 v[61:62], v[61:62], 2.0, -v[59:60]
	v_add_f64 v[55:56], v[15:16], -v[55:56]
	v_add_f64 v[71:72], v[69:70], -v[71:72]
	;; [unrolled: 1-line block ×3, first 2 shown]
	v_add_f64 v[126:127], v[45:46], v[17:18]
	v_add_f64 v[128:129], v[51:52], v[19:20]
	v_add_f64 v[47:48], v[77:78], -v[47:48]
	v_fma_f64 v[3:4], v[3:4], 2.0, -v[29:30]
	v_fma_f64 v[33:34], v[41:42], 2.0, -v[124:125]
	v_add_f64 v[67:68], v[65:66], -v[67:68]
	v_fma_f64 v[25:26], v[25:26], 2.0, -v[122:123]
	v_add_f64 v[27:28], v[63:64], -v[27:28]
	;; [unrolled: 2-line block ×3, first 2 shown]
	v_add_f64 v[39:40], v[75:76], -v[39:40]
	v_add_f64 v[49:50], v[23:24], -v[49:50]
	v_fma_f64 v[1:2], v[1:2], 2.0, -v[43:44]
	v_add_f64 v[53:54], v[101:102], -v[53:54]
	v_add_f64 v[57:58], v[103:104], -v[57:58]
	v_fma_f64 v[7:8], v[13:14], 2.0, -v[37:38]
	v_add_f64 v[61:62], v[118:119], -v[61:62]
	v_fma_f64 v[13:14], v[15:16], 2.0, -v[55:56]
	v_fma_f64 v[15:16], v[69:70], 2.0, -v[71:72]
	;; [unrolled: 1-line block ×8, first 2 shown]
	v_add_nc_u32_e32 v63, 0x400, v110
	v_fma_f64 v[17:18], v[73:74], 2.0, -v[31:32]
	v_fma_f64 v[19:20], v[75:76], 2.0, -v[39:40]
	ds_store_2addr_b64 v110, v[27:28], v[43:44] offset0:80 offset1:120
	ds_store_2addr_b64 v110, v[9:10], v[1:2] offset1:40
	ds_store_2addr_b64 v108, v[11:12], v[3:4] offset1:40
	ds_store_2addr_b64 v108, v[67:68], v[29:30] offset0:80 offset1:120
	ds_store_2addr_b64 v35, v[15:16], v[7:8] offset1:40
	ds_store_2addr_b64 v35, v[71:72], v[37:38] offset0:80 offset1:120
	ds_store_2addr_b64 v110, v[17:18], v[19:20] offset0:168 offset1:184
	;; [unrolled: 1-line block ×5, first 2 shown]
	v_fma_f64 v[23:24], v[23:24], 2.0, -v[49:50]
	v_fma_f64 v[130:131], v[101:102], 2.0, -v[53:54]
	;; [unrolled: 1-line block ×3, first 2 shown]
	s_waitcnt lgkmcnt(0)
	s_barrier
	buffer_gl0_inv
	ds_load_b64 v[70:71], v106
	ds_load_2addr_b64 v[8:11], v110 offset0:160 offset1:176
	ds_load_b64 v[68:69], v111
	ds_load_2addr_b64 v[0:3], v110 offset0:192 offset1:208
	ds_load_2addr_b64 v[4:7], v110 offset0:224 offset1:240
	ds_load_b64 v[66:67], v109
	ds_load_b64 v[78:79], v108
	;; [unrolled: 1-line block ×3, first 2 shown]
	ds_load_2addr_b64 v[16:19], v113 offset1:16
	ds_load_b64 v[64:65], v115
	ds_load_b64 v[102:103], v114
	;; [unrolled: 1-line block ×3, first 2 shown]
	ds_load_2addr_b64 v[12:15], v113 offset0:32 offset1:48
	ds_load_b64 v[104:105], v116
	ds_load_b64 v[72:73], v117
	v_fma_f64 v[118:119], v[118:119], 2.0, -v[61:62]
	s_waitcnt lgkmcnt(0)
	s_barrier
	buffer_gl0_inv
	ds_store_2addr_b64 v110, v[23:24], v[21:22] offset1:40
	ds_store_2addr_b64 v110, v[49:50], v[120:121] offset0:80 offset1:120
	ds_store_2addr_b64 v108, v[51:52], v[25:26] offset1:40
	ds_store_2addr_b64 v108, v[47:48], v[122:123] offset0:80 offset1:120
	;; [unrolled: 2-line block ×3, first 2 shown]
	ds_store_2addr_b64 v110, v[132:133], v[118:119] offset0:168 offset1:184
	ds_store_2addr_b64 v110, v[41:42], v[45:46] offset0:208 offset1:224
	;; [unrolled: 1-line block ×4, first 2 shown]
	s_waitcnt lgkmcnt(0)
	s_barrier
	buffer_gl0_inv
	s_and_saveexec_b32 s0, vcc_lo
	s_cbranch_execz .LBB0_15
; %bb.14:
	v_dual_mov_b32 v101, v36 :: v_dual_add_nc_u32 v118, 48, v80
	v_mov_b32_e32 v92, v36
	v_mov_b32_e32 v94, v36
	v_dual_mov_b32 v81, v36 :: v_dual_add_nc_u32 v120, 0x50, v80
	s_delay_alu instid0(VALU_DEP_4) | instskip(NEXT) | instid1(VALU_DEP_4)
	v_lshlrev_b64 v[20:21], 4, v[100:101]
	v_lshlrev_b64 v[22:23], 4, v[91:92]
	v_add_nc_u32_e32 v101, 32, v80
	v_lshlrev_b64 v[24:25], 4, v[93:94]
	v_dual_mov_b32 v96, v36 :: v_dual_add_nc_u32 v119, 64, v80
	v_add_co_u32 v20, vcc_lo, s8, v20
	v_add_co_ci_u32_e32 v21, vcc_lo, s9, v21, vcc_lo
	v_add_co_u32 v22, vcc_lo, s8, v22
	v_add_co_ci_u32_e32 v23, vcc_lo, s9, v23, vcc_lo
	s_clause 0x1
	global_load_b128 v[32:35], v[20:21], off offset:2400
	global_load_b128 v[28:31], v[22:23], off offset:2400
	v_lshlrev_b64 v[20:21], 4, v[80:81]
	v_dual_mov_b32 v87, v36 :: v_dual_add_nc_u32 v122, 0x70, v80
	v_add_co_u32 v22, vcc_lo, s8, v24
	v_lshlrev_b64 v[37:38], 4, v[95:96]
	v_add_co_ci_u32_e32 v23, vcc_lo, s9, v25, vcc_lo
	v_add_co_u32 v24, vcc_lo, s8, v20
	v_lshlrev_b64 v[39:40], 4, v[86:87]
	v_add_co_ci_u32_e32 v25, vcc_lo, s9, v21, vcc_lo
	v_add_co_u32 v37, vcc_lo, s8, v37
	v_dual_mov_b32 v89, v36 :: v_dual_add_nc_u32 v124, 0x90, v80
	v_add_co_ci_u32_e32 v38, vcc_lo, s9, v38, vcc_lo
	v_add_co_u32 v44, vcc_lo, s8, v39
	v_add_co_ci_u32_e32 v45, vcc_lo, s9, v40, vcc_lo
	s_delay_alu instid0(VALU_DEP_4)
	v_lshlrev_b64 v[39:40], 4, v[88:89]
	v_mul_lo_u32 v87, s3, v84
	v_mul_lo_u32 v88, s2, v85
	v_mad_u64_u32 v[85:86], null, s2, v84, 0
	v_mul_hi_u32 v84, 0xcccccccd, v80
	v_dual_mov_b32 v98, v36 :: v_dual_add_nc_u32 v121, 0x60, v80
	v_dual_mov_b32 v100, v36 :: v_dual_add_nc_u32 v123, 0x80, v80
	s_clause 0x1
	global_load_b128 v[20:23], v[22:23], off offset:2400
	global_load_b128 v[24:27], v[24:25], off offset:2400
	v_lshlrev_b64 v[41:42], 4, v[97:98]
	v_lshlrev_b64 v[81:82], 4, v[82:83]
	v_lshrrev_b32_e32 v84, 7, v84
	v_lshlrev_b64 v[46:47], 4, v[99:100]
	v_add_nc_u32_e32 v83, 16, v80
	v_mul_hi_u32 v125, 0xcccccccd, v101
	v_add_co_u32 v52, vcc_lo, s8, v41
	v_mul_lo_u32 v131, 0xa0, v84
	v_add_co_ci_u32_e32 v53, vcc_lo, s9, v42, vcc_lo
	v_add_co_u32 v54, vcc_lo, s8, v39
	v_add_co_ci_u32_e32 v55, vcc_lo, s9, v40, vcc_lo
	s_clause 0x1
	global_load_b128 v[40:43], v[37:38], off offset:2400
	global_load_b128 v[48:51], v[44:45], off offset:2400
	v_sub_nc_u32_e32 v131, v80, v131
	v_mov_b32_e32 v91, v36
	v_add_co_u32 v46, vcc_lo, s8, v46
	v_add_co_ci_u32_e32 v47, vcc_lo, s9, v47, vcc_lo
	s_delay_alu instid0(VALU_DEP_4) | instskip(NEXT) | instid1(VALU_DEP_4)
	v_add_nc_u32_e32 v144, 0xa0, v131
	v_lshlrev_b64 v[44:45], 4, v[90:91]
	s_clause 0x1
	global_load_b128 v[36:39], v[52:53], off offset:2400
	global_load_b128 v[56:59], v[54:55], off offset:2400
	v_mul_hi_u32 v126, 0xcccccccd, v118
	v_mul_hi_u32 v127, 0xcccccccd, v119
	v_add3_u32 v86, v86, v88, v87
	v_mul_hi_u32 v128, 0xcccccccd, v120
	v_add_co_u32 v44, vcc_lo, s8, v44
	v_add_co_ci_u32_e32 v45, vcc_lo, s9, v45, vcc_lo
	s_clause 0x1
	global_load_b128 v[52:55], v[46:47], off offset:2400
	global_load_b128 v[44:47], v[44:45], off offset:2400
	ds_load_2addr_b64 v[60:63], v113 offset1:16
	ds_load_2addr_b64 v[89:92], v110 offset0:160 offset1:176
	ds_load_2addr_b64 v[93:96], v110 offset0:192 offset1:208
	;; [unrolled: 1-line block ×3, first 2 shown]
	v_mul_hi_u32 v113, 0xcccccccd, v83
	v_mul_hi_u32 v129, 0xcccccccd, v121
	;; [unrolled: 1-line block ×5, first 2 shown]
	v_lshlrev_b64 v[84:85], 4, v[85:86]
	v_lshrrev_b32_e32 v125, 7, v125
	v_lshrrev_b32_e32 v126, 7, v126
	;; [unrolled: 1-line block ×7, first 2 shown]
	v_mul_lo_u32 v86, 0xa0, v132
	v_mul_lo_u32 v87, 0xa0, v125
	v_lshrrev_b32_e32 v134, 7, v88
	v_mul_lo_u32 v88, 0xa0, v126
	v_mul_lo_u32 v113, 0xa0, v127
	v_add_co_u32 v84, vcc_lo, s6, v84
	v_lshrrev_b32_e32 v130, 7, v130
	v_add_co_ci_u32_e32 v85, vcc_lo, s7, v85, vcc_lo
	v_mul_lo_u32 v135, 0xa0, v128
	v_mul_lo_u32 v136, 0xa0, v129
	;; [unrolled: 1-line block ×3, first 2 shown]
	v_add_co_u32 v182, vcc_lo, v84, v81
	v_mul_lo_u32 v139, 0xa0, v130
	v_add_co_ci_u32_e32 v183, vcc_lo, v85, v82, vcc_lo
	v_sub_nc_u32_e32 v82, v83, v86
	v_sub_nc_u32_e32 v83, v101, v87
	v_sub_nc_u32_e32 v84, v118, v88
	v_sub_nc_u32_e32 v85, v119, v113
	v_mul_lo_u32 v138, 0xa0, v134
	v_sub_nc_u32_e32 v86, v120, v135
	v_sub_nc_u32_e32 v87, v121, v136
	v_mad_u64_u32 v[120:121], null, 0x140, v132, v[82:83]
	v_mad_u64_u32 v[80:81], null, s12, v131, 0
	v_sub_nc_u32_e32 v88, v122, v137
	v_mad_u64_u32 v[121:122], null, 0x140, v125, v[83:84]
	v_mad_u64_u32 v[82:83], null, 0x140, v126, v[84:85]
	;; [unrolled: 3-line block ×3, first 2 shown]
	v_mad_u64_u32 v[118:119], null, s12, v144, 0
	v_mad_u64_u32 v[85:86], null, 0x140, v129, v[87:88]
	v_sub_nc_u32_e32 v101, v123, v138
	s_waitcnt lgkmcnt(2)
	v_mad_u64_u32 v[86:87], null, 0x140, v133, v[88:89]
	v_mad_u64_u32 v[122:123], null, 0x140, v130, v[113:114]
	v_mad_u64_u32 v[123:124], null, s13, v131, v[81:82]
	v_mad_u64_u32 v[124:125], null, s12, v120, 0
	v_mad_u64_u32 v[126:127], null, s12, v121, 0
	v_mad_u64_u32 v[128:129], null, s12, v82, 0
	v_mad_u64_u32 v[87:88], null, 0x140, v134, v[101:102]
	v_dual_mov_b32 v81, v119 :: v_dual_add_nc_u32 v168, 0xa0, v120
	v_dual_mov_b32 v88, v125 :: v_dual_add_nc_u32 v169, 0xa0, v121
	v_mad_u64_u32 v[130:131], null, s12, v83, 0
	v_mad_u64_u32 v[132:133], null, s12, v84, 0
	;; [unrolled: 1-line block ×3, first 2 shown]
	v_add_nc_u32_e32 v170, 0xa0, v82
	v_mad_u64_u32 v[134:135], null, s12, v85, 0
	v_mad_u64_u32 v[140:141], null, s12, v122, 0
	v_add_nc_u32_e32 v171, 0xa0, v83
	v_dual_mov_b32 v101, v127 :: v_dual_add_nc_u32 v172, 0xa0, v84
	v_add_nc_u32_e32 v173, 0xa0, v85
	v_dual_mov_b32 v113, v129 :: v_dual_add_nc_u32 v174, 0xa0, v86
	v_mad_u64_u32 v[142:143], null, s13, v144, v[81:82]
	v_mad_u64_u32 v[138:139], null, s12, v87, 0
	;; [unrolled: 1-line block ×4, first 2 shown]
	v_mov_b32_e32 v81, v123
	v_mad_u64_u32 v[147:148], null, s12, v170, 0
	v_dual_mov_b32 v123, v131 :: v_dual_add_nc_u32 v176, 0xa0, v122
	v_mad_u64_u32 v[161:162], null, s13, v120, v[88:89]
	v_mov_b32_e32 v88, v137
	v_mad_u64_u32 v[149:150], null, s12, v171, 0
	v_mov_b32_e32 v125, v133
	v_mad_u64_u32 v[162:163], null, s13, v121, v[101:102]
	v_mad_u64_u32 v[120:121], null, s13, v82, v[113:114]
	v_mov_b32_e32 v82, v141
	v_mad_u64_u32 v[153:154], null, s12, v173, 0
	v_mov_b32_e32 v127, v135
	v_add_nc_u32_e32 v175, 0xa0, v87
	v_mad_u64_u32 v[151:152], null, s12, v172, 0
	v_mad_u64_u32 v[159:160], null, s12, v176, 0
	v_mov_b32_e32 v119, v142
	v_mov_b32_e32 v101, v139
	v_mad_u64_u32 v[141:142], null, s13, v83, v[123:124]
	v_mad_u64_u32 v[163:164], null, s13, v84, v[125:126]
	v_dual_mov_b32 v83, v144 :: v_dual_mov_b32 v84, v146
	v_mad_u64_u32 v[164:165], null, s13, v85, v[127:128]
	v_mov_b32_e32 v85, v148
	v_mad_u64_u32 v[165:166], null, s13, v86, v[88:89]
	v_mad_u64_u32 v[166:167], null, s13, v87, v[101:102]
	;; [unrolled: 1-line block ×6, first 2 shown]
	v_mov_b32_e32 v86, v150
	v_mad_u64_u32 v[157:158], null, s12, v175, 0
	v_mov_b32_e32 v82, v152
	v_mov_b32_e32 v146, v122
	s_delay_alu instid0(VALU_DEP_4)
	v_mad_u64_u32 v[167:168], null, s13, v170, v[85:86]
	v_mov_b32_e32 v83, v156
	v_mad_u64_u32 v[84:85], null, s13, v171, v[86:87]
	v_mov_b32_e32 v88, v154
	v_mov_b32_e32 v85, v158
	v_dual_mov_b32 v135, v164 :: v_dual_mov_b32 v148, v167
	v_mad_u64_u32 v[168:169], null, s13, v172, v[82:83]
	v_mov_b32_e32 v150, v84
	v_mov_b32_e32 v82, v160
	v_mad_u64_u32 v[169:170], null, s13, v173, v[88:89]
	v_mad_u64_u32 v[170:171], null, s13, v174, v[83:84]
	v_mad_u64_u32 v[171:172], null, s13, v175, v[85:86]
	s_delay_alu instid0(VALU_DEP_4)
	v_mad_u64_u32 v[85:86], null, s13, v176, v[82:83]
	v_mov_b32_e32 v133, v163
	v_lshlrev_b64 v[80:81], 4, v[80:81]
	v_dual_mov_b32 v127, v162 :: v_dual_mov_b32 v154, v169
	v_dual_mov_b32 v131, v141 :: v_dual_mov_b32 v158, v171
	;; [unrolled: 1-line block ×3, first 2 shown]
	s_delay_alu instid0(VALU_DEP_4)
	v_add_co_u32 v172, vcc_lo, v182, v80
	v_add_co_ci_u32_e32 v173, vcc_lo, v183, v81, vcc_lo
	ds_load_2addr_b64 v[80:83], v110 offset0:224 offset1:240
	v_dual_mov_b32 v129, v120 :: v_dual_mov_b32 v156, v170
	v_mov_b32_e32 v137, v165
	v_mov_b32_e32 v139, v166
	;; [unrolled: 1-line block ×3, first 2 shown]
	v_lshlrev_b64 v[122:123], 4, v[126:127]
	v_lshlrev_b64 v[126:127], 4, v[130:131]
	;; [unrolled: 1-line block ×3, first 2 shown]
	v_mov_b32_e32 v144, v121
	v_lshlrev_b64 v[120:121], 4, v[124:125]
	v_lshlrev_b64 v[124:125], 4, v[128:129]
	v_mov_b32_e32 v160, v85
	v_lshlrev_b64 v[128:129], 4, v[132:133]
	v_lshlrev_b64 v[118:119], 4, v[118:119]
	ds_load_b64 v[174:175], v117
	ds_load_b64 v[116:117], v116
	;; [unrolled: 1-line block ×6, first 2 shown]
	v_lshlrev_b64 v[84:85], 4, v[143:144]
	v_lshlrev_b64 v[142:143], 4, v[147:148]
	v_add_co_u32 v86, vcc_lo, v182, v118
	v_add_co_ci_u32_e32 v87, vcc_lo, v183, v119, vcc_lo
	ds_load_b64 v[118:119], v109
	ds_load_b64 v[108:109], v108
	;; [unrolled: 1-line block ×4, first 2 shown]
	v_add_co_u32 v120, vcc_lo, v182, v120
	v_add_co_ci_u32_e32 v121, vcc_lo, v183, v121, vcc_lo
	v_add_co_u32 v122, vcc_lo, v182, v122
	v_add_co_ci_u32_e32 v123, vcc_lo, v183, v123, vcc_lo
	s_waitcnt vmcnt(9)
	v_mul_f64 v[178:179], v[18:19], v[34:35]
	v_mul_f64 v[34:35], v[62:63], v[34:35]
	s_waitcnt vmcnt(8)
	v_mul_f64 v[163:164], v[16:17], v[30:31]
	v_mul_f64 v[30:31], v[60:61], v[30:31]
	s_waitcnt vmcnt(7)
	v_mul_f64 v[132:133], v[10:11], v[22:23]
	s_waitcnt vmcnt(6)
	v_mul_f64 v[134:135], v[8:9], v[26:27]
	v_mul_f64 v[26:27], v[89:90], v[26:27]
	;; [unrolled: 1-line block ×3, first 2 shown]
	v_fma_f64 v[62:63], v[62:63], v[32:33], v[178:179]
	v_fma_f64 v[18:19], v[18:19], v[32:33], -v[34:35]
	s_waitcnt vmcnt(5)
	v_mul_f64 v[167:168], v[2:3], v[42:43]
	s_waitcnt vmcnt(4)
	v_mul_f64 v[169:170], v[0:1], v[50:51]
	s_waitcnt lgkmcnt(12)
	v_mul_f64 v[50:51], v[93:94], v[50:51]
	v_mul_f64 v[32:33], v[95:96], v[42:43]
	v_fma_f64 v[42:43], v[60:61], v[28:29], v[163:164]
	v_lshlrev_b64 v[60:61], 4, v[136:137]
	v_lshlrev_b64 v[136:137], 4, v[138:139]
	;; [unrolled: 1-line block ×3, first 2 shown]
	v_fma_f64 v[140:141], v[16:17], v[28:29], -v[30:31]
	s_waitcnt vmcnt(3)
	v_mul_f64 v[180:181], v[6:7], v[38:39]
	s_waitcnt vmcnt(2)
	v_mul_f64 v[34:35], v[4:5], v[58:59]
	s_waitcnt lgkmcnt(10)
	v_mul_f64 v[38:39], v[82:83], v[38:39]
	v_mul_f64 v[58:59], v[80:81], v[58:59]
	s_waitcnt vmcnt(1)
	v_mul_f64 v[16:17], v[52:53], v[99:100]
	s_waitcnt vmcnt(0)
	v_mul_f64 v[30:31], v[12:13], v[46:47]
	v_mul_f64 v[46:47], v[97:98], v[46:47]
	;; [unrolled: 1-line block ×3, first 2 shown]
	v_fma_f64 v[88:89], v[89:90], v[24:25], v[134:135]
	v_fma_f64 v[8:9], v[8:9], v[24:25], -v[26:27]
	v_fma_f64 v[91:92], v[91:92], v[20:21], v[132:133]
	v_fma_f64 v[20:21], v[10:11], v[20:21], -v[22:23]
	v_lshlrev_b64 v[99:100], 4, v[145:146]
	v_lshlrev_b64 v[144:145], 4, v[149:150]
	v_lshlrev_b64 v[146:147], 4, v[151:152]
	v_lshlrev_b64 v[148:149], 4, v[153:154]
	v_lshlrev_b64 v[150:151], 4, v[155:156]
	v_lshlrev_b64 v[152:153], 4, v[157:158]
	v_lshlrev_b64 v[154:155], 4, v[159:160]
	v_fma_f64 v[22:23], v[95:96], v[40:41], v[167:168]
	v_fma_f64 v[24:25], v[93:94], v[48:49], v[169:170]
	v_fma_f64 v[26:27], v[0:1], v[48:49], -v[50:51]
	v_fma_f64 v[32:33], v[2:3], v[40:41], -v[32:33]
	v_add_f64 v[0:1], v[76:77], -v[18:19]
	s_waitcnt lgkmcnt(5)
	v_add_f64 v[2:3], v[176:177], -v[62:63]
	v_fma_f64 v[48:49], v[82:83], v[36:37], v[180:181]
	v_fma_f64 v[34:35], v[80:81], v[56:57], v[34:35]
	v_fma_f64 v[36:37], v[6:7], v[36:37], -v[38:39]
	v_fma_f64 v[4:5], v[4:5], v[56:57], -v[58:59]
	s_waitcnt lgkmcnt(3)
	v_add_f64 v[6:7], v[118:119], -v[42:43]
	v_add_co_u32 v82, vcc_lo, v182, v124
	v_add_co_ci_u32_e32 v83, vcc_lo, v183, v125, vcc_lo
	v_add_co_u32 v93, vcc_lo, v182, v126
	v_fma_f64 v[38:39], v[14:15], v[54:55], v[16:17]
	v_fma_f64 v[50:51], v[97:98], v[44:45], v[30:31]
	v_fma_f64 v[44:45], v[12:13], v[44:45], -v[46:47]
	v_fma_f64 v[40:41], v[14:15], v[52:53], -v[28:29]
	s_waitcnt lgkmcnt(0)
	v_add_f64 v[10:11], v[106:107], -v[88:89]
	v_add_f64 v[8:9], v[70:71], -v[8:9]
	;; [unrolled: 1-line block ×4, first 2 shown]
	v_add_co_ci_u32_e32 v94, vcc_lo, v183, v127, vcc_lo
	v_add_co_u32 v95, vcc_lo, v182, v128
	v_add_co_ci_u32_e32 v96, vcc_lo, v183, v129, vcc_lo
	v_add_co_u32 v97, vcc_lo, v182, v130
	v_add_co_ci_u32_e32 v98, vcc_lo, v183, v131, vcc_lo
	v_add_f64 v[22:23], v[113:114], -v[22:23]
	v_add_f64 v[18:19], v[110:111], -v[24:25]
	;; [unrolled: 1-line block ×4, first 2 shown]
	v_add_co_u32 v124, vcc_lo, v182, v60
	v_add_co_ci_u32_e32 v125, vcc_lo, v183, v61, vcc_lo
	v_add_co_u32 v88, vcc_lo, v182, v136
	v_add_f64 v[26:27], v[116:117], -v[34:35]
	v_add_f64 v[28:29], v[74:75], -v[36:37]
	;; [unrolled: 1-line block ×5, first 2 shown]
	v_add_co_ci_u32_e32 v89, vcc_lo, v183, v137, vcc_lo
	v_add_co_u32 v90, vcc_lo, v182, v138
	v_fma_f64 v[80:81], v[118:119], 2.0, -v[6:7]
	v_add_f64 v[34:35], v[174:175], -v[38:39]
	v_add_f64 v[38:39], v[161:162], -v[50:51]
	;; [unrolled: 1-line block ×4, first 2 shown]
	v_fma_f64 v[46:47], v[106:107], 2.0, -v[10:11]
	v_fma_f64 v[44:45], v[70:71], 2.0, -v[8:9]
	;; [unrolled: 1-line block ×5, first 2 shown]
	v_add_co_ci_u32_e32 v91, vcc_lo, v183, v139, vcc_lo
	v_add_co_u32 v84, vcc_lo, v182, v84
	v_fma_f64 v[42:43], v[176:177], 2.0, -v[2:3]
	v_add_co_ci_u32_e32 v85, vcc_lo, v183, v85, vcc_lo
	v_add_co_u32 v99, vcc_lo, v182, v99
	v_fma_f64 v[58:59], v[113:114], 2.0, -v[22:23]
	v_fma_f64 v[54:55], v[110:111], 2.0, -v[18:19]
	;; [unrolled: 1-line block ×4, first 2 shown]
	v_add_co_ci_u32_e32 v100, vcc_lo, v183, v100, vcc_lo
	v_add_co_u32 v126, vcc_lo, v182, v142
	v_add_co_ci_u32_e32 v127, vcc_lo, v183, v143, vcc_lo
	v_fma_f64 v[62:63], v[116:117], 2.0, -v[26:27]
	v_fma_f64 v[68:69], v[74:75], 2.0, -v[28:29]
	;; [unrolled: 1-line block ×5, first 2 shown]
	v_add_co_u32 v101, vcc_lo, v182, v144
	v_add_co_ci_u32_e32 v102, vcc_lo, v183, v145, vcc_lo
	v_fma_f64 v[66:67], v[174:175], 2.0, -v[34:35]
	v_fma_f64 v[76:77], v[161:162], 2.0, -v[38:39]
	;; [unrolled: 1-line block ×4, first 2 shown]
	v_add_co_u32 v72, vcc_lo, v182, v146
	v_add_co_ci_u32_e32 v73, vcc_lo, v183, v147, vcc_lo
	v_add_co_u32 v103, vcc_lo, v182, v148
	v_add_co_ci_u32_e32 v104, vcc_lo, v183, v149, vcc_lo
	;; [unrolled: 2-line block ×4, first 2 shown]
	s_clause 0xe
	global_store_b128 v[172:173], v[44:47], off
	global_store_b128 v[86:87], v[8:11], off
	;; [unrolled: 1-line block ×15, first 2 shown]
	v_add_co_u32 v4, vcc_lo, v182, v154
	v_add_co_ci_u32_e32 v5, vcc_lo, v183, v155, vcc_lo
	s_clause 0x4
	global_store_b128 v[105:106], v[0:3], off
	global_store_b128 v[88:89], v[74:77], off
	;; [unrolled: 1-line block ×5, first 2 shown]
.LBB0_15:
	s_nop 0
	s_sendmsg sendmsg(MSG_DEALLOC_VGPRS)
	s_endpgm
	.section	.rodata,"a",@progbits
	.p2align	6, 0x0
	.amdhsa_kernel fft_rtc_fwd_len320_factors_10_4_4_2_wgs_64_tpt_16_halfLds_dp_op_CI_CI_sbrr_dirReg
		.amdhsa_group_segment_fixed_size 0
		.amdhsa_private_segment_fixed_size 0
		.amdhsa_kernarg_size 104
		.amdhsa_user_sgpr_count 15
		.amdhsa_user_sgpr_dispatch_ptr 0
		.amdhsa_user_sgpr_queue_ptr 0
		.amdhsa_user_sgpr_kernarg_segment_ptr 1
		.amdhsa_user_sgpr_dispatch_id 0
		.amdhsa_user_sgpr_private_segment_size 0
		.amdhsa_wavefront_size32 1
		.amdhsa_uses_dynamic_stack 0
		.amdhsa_enable_private_segment 0
		.amdhsa_system_sgpr_workgroup_id_x 1
		.amdhsa_system_sgpr_workgroup_id_y 0
		.amdhsa_system_sgpr_workgroup_id_z 0
		.amdhsa_system_sgpr_workgroup_info 0
		.amdhsa_system_vgpr_workitem_id 0
		.amdhsa_next_free_vgpr 188
		.amdhsa_next_free_sgpr 31
		.amdhsa_reserve_vcc 1
		.amdhsa_float_round_mode_32 0
		.amdhsa_float_round_mode_16_64 0
		.amdhsa_float_denorm_mode_32 3
		.amdhsa_float_denorm_mode_16_64 3
		.amdhsa_dx10_clamp 1
		.amdhsa_ieee_mode 1
		.amdhsa_fp16_overflow 0
		.amdhsa_workgroup_processor_mode 1
		.amdhsa_memory_ordered 1
		.amdhsa_forward_progress 0
		.amdhsa_shared_vgpr_count 0
		.amdhsa_exception_fp_ieee_invalid_op 0
		.amdhsa_exception_fp_denorm_src 0
		.amdhsa_exception_fp_ieee_div_zero 0
		.amdhsa_exception_fp_ieee_overflow 0
		.amdhsa_exception_fp_ieee_underflow 0
		.amdhsa_exception_fp_ieee_inexact 0
		.amdhsa_exception_int_div_zero 0
	.end_amdhsa_kernel
	.text
.Lfunc_end0:
	.size	fft_rtc_fwd_len320_factors_10_4_4_2_wgs_64_tpt_16_halfLds_dp_op_CI_CI_sbrr_dirReg, .Lfunc_end0-fft_rtc_fwd_len320_factors_10_4_4_2_wgs_64_tpt_16_halfLds_dp_op_CI_CI_sbrr_dirReg
                                        ; -- End function
	.section	.AMDGPU.csdata,"",@progbits
; Kernel info:
; codeLenInByte = 12860
; NumSgprs: 33
; NumVgprs: 188
; ScratchSize: 0
; MemoryBound: 1
; FloatMode: 240
; IeeeMode: 1
; LDSByteSize: 0 bytes/workgroup (compile time only)
; SGPRBlocks: 4
; VGPRBlocks: 23
; NumSGPRsForWavesPerEU: 33
; NumVGPRsForWavesPerEU: 188
; Occupancy: 8
; WaveLimiterHint : 1
; COMPUTE_PGM_RSRC2:SCRATCH_EN: 0
; COMPUTE_PGM_RSRC2:USER_SGPR: 15
; COMPUTE_PGM_RSRC2:TRAP_HANDLER: 0
; COMPUTE_PGM_RSRC2:TGID_X_EN: 1
; COMPUTE_PGM_RSRC2:TGID_Y_EN: 0
; COMPUTE_PGM_RSRC2:TGID_Z_EN: 0
; COMPUTE_PGM_RSRC2:TIDIG_COMP_CNT: 0
	.text
	.p2alignl 7, 3214868480
	.fill 96, 4, 3214868480
	.type	__hip_cuid_2dd213ad3680f84e,@object ; @__hip_cuid_2dd213ad3680f84e
	.section	.bss,"aw",@nobits
	.globl	__hip_cuid_2dd213ad3680f84e
__hip_cuid_2dd213ad3680f84e:
	.byte	0                               ; 0x0
	.size	__hip_cuid_2dd213ad3680f84e, 1

	.ident	"AMD clang version 19.0.0git (https://github.com/RadeonOpenCompute/llvm-project roc-6.4.0 25133 c7fe45cf4b819c5991fe208aaa96edf142730f1d)"
	.section	".note.GNU-stack","",@progbits
	.addrsig
	.addrsig_sym __hip_cuid_2dd213ad3680f84e
	.amdgpu_metadata
---
amdhsa.kernels:
  - .args:
      - .actual_access:  read_only
        .address_space:  global
        .offset:         0
        .size:           8
        .value_kind:     global_buffer
      - .offset:         8
        .size:           8
        .value_kind:     by_value
      - .actual_access:  read_only
        .address_space:  global
        .offset:         16
        .size:           8
        .value_kind:     global_buffer
      - .actual_access:  read_only
        .address_space:  global
        .offset:         24
        .size:           8
        .value_kind:     global_buffer
      - .actual_access:  read_only
        .address_space:  global
        .offset:         32
        .size:           8
        .value_kind:     global_buffer
      - .offset:         40
        .size:           8
        .value_kind:     by_value
      - .actual_access:  read_only
        .address_space:  global
        .offset:         48
        .size:           8
        .value_kind:     global_buffer
      - .actual_access:  read_only
        .address_space:  global
        .offset:         56
        .size:           8
        .value_kind:     global_buffer
      - .offset:         64
        .size:           4
        .value_kind:     by_value
      - .actual_access:  read_only
        .address_space:  global
        .offset:         72
        .size:           8
        .value_kind:     global_buffer
      - .actual_access:  read_only
        .address_space:  global
        .offset:         80
        .size:           8
        .value_kind:     global_buffer
      - .actual_access:  read_only
        .address_space:  global
        .offset:         88
        .size:           8
        .value_kind:     global_buffer
      - .actual_access:  write_only
        .address_space:  global
        .offset:         96
        .size:           8
        .value_kind:     global_buffer
    .group_segment_fixed_size: 0
    .kernarg_segment_align: 8
    .kernarg_segment_size: 104
    .language:       OpenCL C
    .language_version:
      - 2
      - 0
    .max_flat_workgroup_size: 64
    .name:           fft_rtc_fwd_len320_factors_10_4_4_2_wgs_64_tpt_16_halfLds_dp_op_CI_CI_sbrr_dirReg
    .private_segment_fixed_size: 0
    .sgpr_count:     33
    .sgpr_spill_count: 0
    .symbol:         fft_rtc_fwd_len320_factors_10_4_4_2_wgs_64_tpt_16_halfLds_dp_op_CI_CI_sbrr_dirReg.kd
    .uniform_work_group_size: 1
    .uses_dynamic_stack: false
    .vgpr_count:     188
    .vgpr_spill_count: 0
    .wavefront_size: 32
    .workgroup_processor_mode: 1
amdhsa.target:   amdgcn-amd-amdhsa--gfx1100
amdhsa.version:
  - 1
  - 2
...

	.end_amdgpu_metadata
